;; amdgpu-corpus repo=pytorch/pytorch kind=compiled arch=gfx906 opt=O3
	.amdgcn_target "amdgcn-amd-amdhsa--gfx906"
	.amdhsa_code_object_version 6
	.section	.text._ZN2at6native12_GLOBAL__N_128upsample_nearest1d_out_frameIdXadL_ZNS0_37nearest_neighbor_compute_source_indexEfiiEEEEvPKT_mmmmPS3_f,"axG",@progbits,_ZN2at6native12_GLOBAL__N_128upsample_nearest1d_out_frameIdXadL_ZNS0_37nearest_neighbor_compute_source_indexEfiiEEEEvPKT_mmmmPS3_f,comdat
	.globl	_ZN2at6native12_GLOBAL__N_128upsample_nearest1d_out_frameIdXadL_ZNS0_37nearest_neighbor_compute_source_indexEfiiEEEEvPKT_mmmmPS3_f ; -- Begin function _ZN2at6native12_GLOBAL__N_128upsample_nearest1d_out_frameIdXadL_ZNS0_37nearest_neighbor_compute_source_indexEfiiEEEEvPKT_mmmmPS3_f
	.p2align	8
	.type	_ZN2at6native12_GLOBAL__N_128upsample_nearest1d_out_frameIdXadL_ZNS0_37nearest_neighbor_compute_source_indexEfiiEEEEvPKT_mmmmPS3_f,@function
_ZN2at6native12_GLOBAL__N_128upsample_nearest1d_out_frameIdXadL_ZNS0_37nearest_neighbor_compute_source_indexEfiiEEEEvPKT_mmmmPS3_f: ; @_ZN2at6native12_GLOBAL__N_128upsample_nearest1d_out_frameIdXadL_ZNS0_37nearest_neighbor_compute_source_indexEfiiEEEEvPKT_mmmmPS3_f
; %bb.0:
	s_load_dword s0, s[4:5], 0x44
	s_load_dwordx4 s[16:19], s[4:5], 0x20
	s_load_dwordx8 s[8:15], s[4:5], 0x0
	s_waitcnt lgkmcnt(0)
	s_and_b32 s0, s0, 0xffff
	s_mul_i32 s6, s6, s0
	s_mul_i32 s0, s16, s13
	s_mul_hi_u32 s1, s16, s12
	v_add_u32_e32 v0, s6, v0
	s_add_i32 s0, s1, s0
	s_mul_i32 s1, s17, s12
	v_ashrrev_i32_e32 v1, 31, v0
	s_add_i32 s3, s0, s1
	s_mul_i32 s2, s16, s12
	v_cmp_gt_u64_e32 vcc, s[2:3], v[0:1]
	s_and_saveexec_b64 s[0:1], vcc
	s_cbranch_execz .LBB0_12
; %bb.1:
	s_cmp_eq_u64 s[10:11], 0
	s_cbranch_scc1 .LBB0_12
; %bb.2:
	v_or_b32_e32 v3, s17, v1
	v_mov_b32_e32 v2, 0
	v_cmp_ne_u64_e32 vcc, 0, v[2:3]
                                        ; implicit-def: $vgpr2_vgpr3
	s_and_saveexec_b64 s[0:1], vcc
	s_xor_b64 s[6:7], exec, s[0:1]
	s_cbranch_execz .LBB0_4
; %bb.3:
	v_cvt_f32_u32_e32 v2, s16
	v_cvt_f32_u32_e32 v3, s17
	s_sub_u32 s15, 0, s16
	s_subb_u32 s20, 0, s17
	v_madmk_f32 v2, v3, 0x4f800000, v2
	v_rcp_f32_e32 v2, v2
	v_mul_f32_e32 v2, 0x5f7ffffc, v2
	v_mul_f32_e32 v3, 0x2f800000, v2
	v_trunc_f32_e32 v3, v3
	v_madmk_f32 v2, v3, 0xcf800000, v2
	v_cvt_u32_f32_e32 v3, v3
	v_cvt_u32_f32_e32 v2, v2
	v_readfirstlane_b32 s21, v3
	v_readfirstlane_b32 s0, v2
	s_mul_i32 s1, s15, s21
	s_mul_hi_u32 s23, s15, s0
	s_mul_i32 s22, s20, s0
	s_add_i32 s1, s23, s1
	s_mul_i32 s24, s15, s0
	s_add_i32 s1, s1, s22
	s_mul_i32 s23, s0, s1
	s_mul_hi_u32 s25, s0, s24
	s_mul_hi_u32 s22, s0, s1
	s_add_u32 s23, s25, s23
	s_addc_u32 s22, 0, s22
	s_mul_hi_u32 s26, s21, s24
	s_mul_i32 s24, s21, s24
	s_add_u32 s23, s23, s24
	s_mul_hi_u32 s25, s21, s1
	s_addc_u32 s22, s22, s26
	s_addc_u32 s23, s25, 0
	s_mul_i32 s1, s21, s1
	s_add_u32 s1, s22, s1
	s_addc_u32 s22, 0, s23
	s_add_u32 s23, s0, s1
	s_cselect_b64 s[0:1], -1, 0
	s_cmp_lg_u64 s[0:1], 0
	s_addc_u32 s21, s21, s22
	s_mul_i32 s0, s15, s21
	s_mul_hi_u32 s1, s15, s23
	s_add_i32 s0, s1, s0
	s_mul_i32 s20, s20, s23
	s_add_i32 s0, s0, s20
	s_mul_i32 s15, s15, s23
	s_mul_hi_u32 s20, s21, s15
	s_mul_i32 s22, s21, s15
	s_mul_i32 s25, s23, s0
	s_mul_hi_u32 s15, s23, s15
	s_mul_hi_u32 s24, s23, s0
	s_add_u32 s15, s15, s25
	s_addc_u32 s24, 0, s24
	s_add_u32 s15, s15, s22
	s_mul_hi_u32 s1, s21, s0
	s_addc_u32 s15, s24, s20
	s_addc_u32 s1, s1, 0
	s_mul_i32 s0, s21, s0
	s_add_u32 s0, s15, s0
	s_addc_u32 s15, 0, s1
	s_add_u32 s20, s23, s0
	s_cselect_b64 s[0:1], -1, 0
	s_cmp_lg_u64 s[0:1], 0
	s_addc_u32 s15, s21, s15
	v_mad_u64_u32 v[2:3], s[0:1], v0, s15, 0
	v_mul_hi_u32 v4, v0, s20
	v_add_co_u32_e32 v6, vcc, v4, v2
	v_addc_co_u32_e32 v7, vcc, 0, v3, vcc
	v_mad_u64_u32 v[2:3], s[0:1], v1, s20, 0
	v_mad_u64_u32 v[4:5], s[0:1], v1, s15, 0
	v_add_co_u32_e32 v2, vcc, v6, v2
	v_addc_co_u32_e32 v2, vcc, v7, v3, vcc
	v_addc_co_u32_e32 v3, vcc, 0, v5, vcc
	v_add_co_u32_e32 v4, vcc, v2, v4
	v_addc_co_u32_e32 v5, vcc, 0, v3, vcc
	v_mul_lo_u32 v6, s17, v4
	v_mul_lo_u32 v7, s16, v5
	v_mad_u64_u32 v[2:3], s[0:1], s16, v4, 0
	v_add3_u32 v3, v3, v7, v6
	v_sub_u32_e32 v6, v1, v3
	v_mov_b32_e32 v7, s17
	v_sub_co_u32_e32 v2, vcc, v0, v2
	v_subb_co_u32_e64 v6, s[0:1], v6, v7, vcc
	v_subrev_co_u32_e64 v7, s[0:1], s16, v2
	v_subbrev_co_u32_e64 v6, s[0:1], 0, v6, s[0:1]
	v_cmp_le_u32_e64 s[0:1], s17, v6
	v_cndmask_b32_e64 v8, 0, -1, s[0:1]
	v_cmp_le_u32_e64 s[0:1], s16, v7
	v_cndmask_b32_e64 v7, 0, -1, s[0:1]
	v_cmp_eq_u32_e64 s[0:1], s17, v6
	v_cndmask_b32_e64 v6, v8, v7, s[0:1]
	v_add_co_u32_e64 v7, s[0:1], 2, v4
	v_addc_co_u32_e64 v8, s[0:1], 0, v5, s[0:1]
	v_add_co_u32_e64 v9, s[0:1], 1, v4
	v_addc_co_u32_e64 v10, s[0:1], 0, v5, s[0:1]
	v_subb_co_u32_e32 v3, vcc, v1, v3, vcc
	v_cmp_ne_u32_e64 s[0:1], 0, v6
	v_cmp_le_u32_e32 vcc, s17, v3
	v_cndmask_b32_e64 v6, v10, v8, s[0:1]
	v_cndmask_b32_e64 v8, 0, -1, vcc
	v_cmp_le_u32_e32 vcc, s16, v2
	v_cndmask_b32_e64 v2, 0, -1, vcc
	v_cmp_eq_u32_e32 vcc, s17, v3
	v_cndmask_b32_e32 v2, v8, v2, vcc
	v_cmp_ne_u32_e32 vcc, 0, v2
	v_cndmask_b32_e64 v2, v9, v7, s[0:1]
	v_cndmask_b32_e32 v3, v5, v6, vcc
	v_cndmask_b32_e32 v2, v4, v2, vcc
.LBB0_4:
	s_andn2_saveexec_b64 s[0:1], s[6:7]
	s_cbranch_execz .LBB0_6
; %bb.5:
	v_cvt_f32_u32_e32 v2, s16
	s_sub_i32 s6, 0, s16
	v_rcp_iflag_f32_e32 v2, v2
	v_mul_f32_e32 v2, 0x4f7ffffe, v2
	v_cvt_u32_f32_e32 v2, v2
	v_mul_lo_u32 v3, s6, v2
	v_mul_hi_u32 v3, v2, v3
	v_add_u32_e32 v2, v2, v3
	v_mul_hi_u32 v2, v0, v2
	v_mul_lo_u32 v3, v2, s16
	v_add_u32_e32 v4, 1, v2
	v_sub_u32_e32 v3, v0, v3
	v_subrev_u32_e32 v5, s16, v3
	v_cmp_le_u32_e32 vcc, s16, v3
	v_cndmask_b32_e32 v3, v3, v5, vcc
	v_cndmask_b32_e32 v2, v2, v4, vcc
	v_add_u32_e32 v4, 1, v2
	v_cmp_le_u32_e32 vcc, s16, v3
	v_cndmask_b32_e32 v2, v2, v4, vcc
	v_mov_b32_e32 v3, 0
.LBB0_6:
	s_or_b64 exec, exec, s[0:1]
	v_or_b32_e32 v5, s13, v3
	v_mov_b32_e32 v4, 0
	v_cmp_ne_u64_e32 vcc, 0, v[4:5]
                                        ; implicit-def: $vgpr4_vgpr5
	s_and_saveexec_b64 s[0:1], vcc
	s_xor_b64 s[6:7], exec, s[0:1]
	s_cbranch_execz .LBB0_8
; %bb.7:
	v_cvt_f32_u32_e32 v4, s12
	v_cvt_f32_u32_e32 v5, s13
	s_sub_u32 s15, 0, s12
	s_subb_u32 s17, 0, s13
	v_madmk_f32 v4, v5, 0x4f800000, v4
	v_rcp_f32_e32 v4, v4
	v_mul_f32_e32 v4, 0x5f7ffffc, v4
	v_mul_f32_e32 v5, 0x2f800000, v4
	v_trunc_f32_e32 v5, v5
	v_madmk_f32 v4, v5, 0xcf800000, v4
	v_cvt_u32_f32_e32 v5, v5
	v_cvt_u32_f32_e32 v4, v4
	v_readfirstlane_b32 s20, v5
	v_readfirstlane_b32 s0, v4
	s_mul_i32 s1, s15, s20
	s_mul_hi_u32 s22, s15, s0
	s_mul_i32 s21, s17, s0
	s_add_i32 s1, s22, s1
	s_mul_i32 s23, s15, s0
	s_add_i32 s1, s1, s21
	s_mul_i32 s22, s0, s1
	s_mul_hi_u32 s24, s0, s23
	s_mul_hi_u32 s21, s0, s1
	s_add_u32 s22, s24, s22
	s_addc_u32 s21, 0, s21
	s_mul_hi_u32 s25, s20, s23
	s_mul_i32 s23, s20, s23
	s_add_u32 s22, s22, s23
	s_mul_hi_u32 s24, s20, s1
	s_addc_u32 s21, s21, s25
	s_addc_u32 s22, s24, 0
	s_mul_i32 s1, s20, s1
	s_add_u32 s1, s21, s1
	s_addc_u32 s21, 0, s22
	s_add_u32 s22, s0, s1
	s_cselect_b64 s[0:1], -1, 0
	s_cmp_lg_u64 s[0:1], 0
	s_addc_u32 s20, s20, s21
	s_mul_i32 s0, s15, s20
	s_mul_hi_u32 s1, s15, s22
	s_add_i32 s0, s1, s0
	s_mul_i32 s17, s17, s22
	s_add_i32 s0, s0, s17
	s_mul_i32 s15, s15, s22
	s_mul_hi_u32 s17, s20, s15
	s_mul_i32 s21, s20, s15
	s_mul_i32 s24, s22, s0
	s_mul_hi_u32 s15, s22, s15
	s_mul_hi_u32 s23, s22, s0
	s_add_u32 s15, s15, s24
	s_addc_u32 s23, 0, s23
	s_add_u32 s15, s15, s21
	s_mul_hi_u32 s1, s20, s0
	s_addc_u32 s15, s23, s17
	s_addc_u32 s1, s1, 0
	s_mul_i32 s0, s20, s0
	s_add_u32 s0, s15, s0
	s_addc_u32 s15, 0, s1
	s_add_u32 s17, s22, s0
	s_cselect_b64 s[0:1], -1, 0
	s_cmp_lg_u64 s[0:1], 0
	s_addc_u32 s15, s20, s15
	v_mad_u64_u32 v[4:5], s[0:1], v2, s15, 0
	v_mul_hi_u32 v6, v2, s17
	v_add_co_u32_e32 v8, vcc, v6, v4
	v_addc_co_u32_e32 v9, vcc, 0, v5, vcc
	v_mad_u64_u32 v[4:5], s[0:1], v3, s17, 0
	v_mad_u64_u32 v[6:7], s[0:1], v3, s15, 0
	v_add_co_u32_e32 v4, vcc, v8, v4
	v_addc_co_u32_e32 v4, vcc, v9, v5, vcc
	v_addc_co_u32_e32 v5, vcc, 0, v7, vcc
	v_add_co_u32_e32 v4, vcc, v4, v6
	v_addc_co_u32_e32 v5, vcc, 0, v5, vcc
	v_mul_lo_u32 v6, s13, v4
	v_mul_lo_u32 v7, s12, v5
	v_mad_u64_u32 v[4:5], s[0:1], s12, v4, 0
	v_add3_u32 v5, v5, v7, v6
	v_sub_u32_e32 v6, v3, v5
	v_mov_b32_e32 v7, s13
	v_sub_co_u32_e32 v4, vcc, v2, v4
	v_subb_co_u32_e64 v6, s[0:1], v6, v7, vcc
	v_subrev_co_u32_e64 v7, s[0:1], s12, v4
	v_subbrev_co_u32_e64 v6, s[0:1], 0, v6, s[0:1]
	v_cmp_le_u32_e64 s[0:1], s13, v6
	v_subb_co_u32_e32 v3, vcc, v3, v5, vcc
	v_cndmask_b32_e64 v8, 0, -1, s[0:1]
	v_cmp_le_u32_e64 s[0:1], s12, v7
	v_cmp_le_u32_e32 vcc, s13, v3
	v_cndmask_b32_e64 v9, 0, -1, s[0:1]
	v_cmp_eq_u32_e64 s[0:1], s13, v6
	v_cndmask_b32_e64 v5, 0, -1, vcc
	v_cmp_le_u32_e32 vcc, s12, v4
	v_cndmask_b32_e64 v6, v8, v9, s[0:1]
	v_cndmask_b32_e64 v9, 0, -1, vcc
	v_cmp_eq_u32_e32 vcc, s13, v3
	v_subrev_co_u32_e64 v8, s[0:1], s12, v7
	v_cndmask_b32_e32 v3, v5, v9, vcc
	v_cmp_ne_u32_e32 vcc, 0, v6
	v_cndmask_b32_e32 v5, v7, v8, vcc
	v_cmp_ne_u32_e32 vcc, 0, v3
	v_cndmask_b32_e32 v4, v4, v5, vcc
.LBB0_8:
	s_andn2_saveexec_b64 s[0:1], s[6:7]
	s_cbranch_execz .LBB0_10
; %bb.9:
	v_cvt_f32_u32_e32 v3, s12
	s_sub_i32 s6, 0, s12
	v_rcp_iflag_f32_e32 v3, v3
	v_mul_f32_e32 v3, 0x4f7ffffe, v3
	v_cvt_u32_f32_e32 v3, v3
	v_mul_lo_u32 v4, s6, v3
	v_mul_hi_u32 v4, v3, v4
	v_add_u32_e32 v3, v3, v4
	v_mul_hi_u32 v3, v2, v3
	v_mul_lo_u32 v3, v3, s12
	v_sub_u32_e32 v3, v2, v3
	v_subrev_u32_e32 v4, s12, v3
	v_cmp_le_u32_e32 vcc, s12, v3
	v_cndmask_b32_e32 v3, v3, v4, vcc
	v_subrev_u32_e32 v4, s12, v3
	v_cmp_le_u32_e32 vcc, s12, v3
	v_cndmask_b32_e32 v4, v3, v4, vcc
.LBB0_10:
	s_or_b64 exec, exec, s[0:1]
	v_mul_lo_u32 v2, v2, s16
	s_load_dword s0, s[4:5], 0x30
	s_add_i32 s1, s14, -1
	v_mov_b32_e32 v6, s19
	v_sub_u32_e32 v2, v0, v2
	v_cvt_f32_i32_e32 v2, v2
	s_mul_i32 s6, s14, s12
	s_mov_b64 s[4:5], 0
	s_waitcnt lgkmcnt(0)
	v_mul_f32_e32 v2, s0, v2
	v_floor_f32_e32 v2, v2
	v_cvt_i32_f32_e32 v5, v2
	v_lshlrev_b64 v[2:3], 3, v[0:1]
	v_add_co_u32_e32 v2, vcc, s18, v2
	v_min_i32_e32 v0, s1, v5
	v_mad_u64_u32 v[0:1], s[0:1], v4, s14, v[0:1]
	s_bfe_i64 s[0:1], s[2:3], 0x200000
	s_lshl_b64 s[2:3], s[0:1], 3
	v_addc_co_u32_e32 v3, vcc, v6, v3, vcc
	v_mov_b32_e32 v4, s9
	v_mov_b32_e32 v5, s3
.LBB0_11:                               ; =>This Inner Loop Header: Depth=1
	v_ashrrev_i32_e32 v1, 31, v0
	v_lshlrev_b64 v[6:7], 3, v[0:1]
	s_add_u32 s4, s4, 1
	v_add_co_u32_e32 v6, vcc, s8, v6
	v_addc_co_u32_e32 v7, vcc, v4, v7, vcc
	global_load_dwordx2 v[6:7], v[6:7], off
	s_addc_u32 s5, s5, 0
	v_mov_b32_e32 v9, s5
	v_mov_b32_e32 v8, s4
	v_cmp_gt_u64_e32 vcc, s[10:11], v[8:9]
	v_add_u32_e32 v0, s6, v0
	s_and_b64 vcc, exec, vcc
	s_waitcnt vmcnt(0)
	global_store_dwordx2 v[2:3], v[6:7], off
	v_add_co_u32_e64 v2, s[0:1], s2, v2
	v_addc_co_u32_e64 v3, s[0:1], v3, v5, s[0:1]
	s_cbranch_vccnz .LBB0_11
.LBB0_12:
	s_endpgm
	.section	.rodata,"a",@progbits
	.p2align	6, 0x0
	.amdhsa_kernel _ZN2at6native12_GLOBAL__N_128upsample_nearest1d_out_frameIdXadL_ZNS0_37nearest_neighbor_compute_source_indexEfiiEEEEvPKT_mmmmPS3_f
		.amdhsa_group_segment_fixed_size 0
		.amdhsa_private_segment_fixed_size 0
		.amdhsa_kernarg_size 312
		.amdhsa_user_sgpr_count 6
		.amdhsa_user_sgpr_private_segment_buffer 1
		.amdhsa_user_sgpr_dispatch_ptr 0
		.amdhsa_user_sgpr_queue_ptr 0
		.amdhsa_user_sgpr_kernarg_segment_ptr 1
		.amdhsa_user_sgpr_dispatch_id 0
		.amdhsa_user_sgpr_flat_scratch_init 0
		.amdhsa_user_sgpr_private_segment_size 0
		.amdhsa_uses_dynamic_stack 0
		.amdhsa_system_sgpr_private_segment_wavefront_offset 0
		.amdhsa_system_sgpr_workgroup_id_x 1
		.amdhsa_system_sgpr_workgroup_id_y 0
		.amdhsa_system_sgpr_workgroup_id_z 0
		.amdhsa_system_sgpr_workgroup_info 0
		.amdhsa_system_vgpr_workitem_id 0
		.amdhsa_next_free_vgpr 11
		.amdhsa_next_free_sgpr 27
		.amdhsa_reserve_vcc 1
		.amdhsa_reserve_flat_scratch 0
		.amdhsa_float_round_mode_32 0
		.amdhsa_float_round_mode_16_64 0
		.amdhsa_float_denorm_mode_32 3
		.amdhsa_float_denorm_mode_16_64 3
		.amdhsa_dx10_clamp 1
		.amdhsa_ieee_mode 1
		.amdhsa_fp16_overflow 0
		.amdhsa_exception_fp_ieee_invalid_op 0
		.amdhsa_exception_fp_denorm_src 0
		.amdhsa_exception_fp_ieee_div_zero 0
		.amdhsa_exception_fp_ieee_overflow 0
		.amdhsa_exception_fp_ieee_underflow 0
		.amdhsa_exception_fp_ieee_inexact 0
		.amdhsa_exception_int_div_zero 0
	.end_amdhsa_kernel
	.section	.text._ZN2at6native12_GLOBAL__N_128upsample_nearest1d_out_frameIdXadL_ZNS0_37nearest_neighbor_compute_source_indexEfiiEEEEvPKT_mmmmPS3_f,"axG",@progbits,_ZN2at6native12_GLOBAL__N_128upsample_nearest1d_out_frameIdXadL_ZNS0_37nearest_neighbor_compute_source_indexEfiiEEEEvPKT_mmmmPS3_f,comdat
.Lfunc_end0:
	.size	_ZN2at6native12_GLOBAL__N_128upsample_nearest1d_out_frameIdXadL_ZNS0_37nearest_neighbor_compute_source_indexEfiiEEEEvPKT_mmmmPS3_f, .Lfunc_end0-_ZN2at6native12_GLOBAL__N_128upsample_nearest1d_out_frameIdXadL_ZNS0_37nearest_neighbor_compute_source_indexEfiiEEEEvPKT_mmmmPS3_f
                                        ; -- End function
	.set _ZN2at6native12_GLOBAL__N_128upsample_nearest1d_out_frameIdXadL_ZNS0_37nearest_neighbor_compute_source_indexEfiiEEEEvPKT_mmmmPS3_f.num_vgpr, 11
	.set _ZN2at6native12_GLOBAL__N_128upsample_nearest1d_out_frameIdXadL_ZNS0_37nearest_neighbor_compute_source_indexEfiiEEEEvPKT_mmmmPS3_f.num_agpr, 0
	.set _ZN2at6native12_GLOBAL__N_128upsample_nearest1d_out_frameIdXadL_ZNS0_37nearest_neighbor_compute_source_indexEfiiEEEEvPKT_mmmmPS3_f.numbered_sgpr, 27
	.set _ZN2at6native12_GLOBAL__N_128upsample_nearest1d_out_frameIdXadL_ZNS0_37nearest_neighbor_compute_source_indexEfiiEEEEvPKT_mmmmPS3_f.num_named_barrier, 0
	.set _ZN2at6native12_GLOBAL__N_128upsample_nearest1d_out_frameIdXadL_ZNS0_37nearest_neighbor_compute_source_indexEfiiEEEEvPKT_mmmmPS3_f.private_seg_size, 0
	.set _ZN2at6native12_GLOBAL__N_128upsample_nearest1d_out_frameIdXadL_ZNS0_37nearest_neighbor_compute_source_indexEfiiEEEEvPKT_mmmmPS3_f.uses_vcc, 1
	.set _ZN2at6native12_GLOBAL__N_128upsample_nearest1d_out_frameIdXadL_ZNS0_37nearest_neighbor_compute_source_indexEfiiEEEEvPKT_mmmmPS3_f.uses_flat_scratch, 0
	.set _ZN2at6native12_GLOBAL__N_128upsample_nearest1d_out_frameIdXadL_ZNS0_37nearest_neighbor_compute_source_indexEfiiEEEEvPKT_mmmmPS3_f.has_dyn_sized_stack, 0
	.set _ZN2at6native12_GLOBAL__N_128upsample_nearest1d_out_frameIdXadL_ZNS0_37nearest_neighbor_compute_source_indexEfiiEEEEvPKT_mmmmPS3_f.has_recursion, 0
	.set _ZN2at6native12_GLOBAL__N_128upsample_nearest1d_out_frameIdXadL_ZNS0_37nearest_neighbor_compute_source_indexEfiiEEEEvPKT_mmmmPS3_f.has_indirect_call, 0
	.section	.AMDGPU.csdata,"",@progbits
; Kernel info:
; codeLenInByte = 1608
; TotalNumSgprs: 31
; NumVgprs: 11
; ScratchSize: 0
; MemoryBound: 0
; FloatMode: 240
; IeeeMode: 1
; LDSByteSize: 0 bytes/workgroup (compile time only)
; SGPRBlocks: 3
; VGPRBlocks: 2
; NumSGPRsForWavesPerEU: 31
; NumVGPRsForWavesPerEU: 11
; Occupancy: 10
; WaveLimiterHint : 0
; COMPUTE_PGM_RSRC2:SCRATCH_EN: 0
; COMPUTE_PGM_RSRC2:USER_SGPR: 6
; COMPUTE_PGM_RSRC2:TRAP_HANDLER: 0
; COMPUTE_PGM_RSRC2:TGID_X_EN: 1
; COMPUTE_PGM_RSRC2:TGID_Y_EN: 0
; COMPUTE_PGM_RSRC2:TGID_Z_EN: 0
; COMPUTE_PGM_RSRC2:TIDIG_COMP_CNT: 0
	.section	.text._ZN2at6native12_GLOBAL__N_128upsample_nearest1d_out_frameIfXadL_ZNS0_37nearest_neighbor_compute_source_indexEfiiEEEEvPKT_mmmmPS3_f,"axG",@progbits,_ZN2at6native12_GLOBAL__N_128upsample_nearest1d_out_frameIfXadL_ZNS0_37nearest_neighbor_compute_source_indexEfiiEEEEvPKT_mmmmPS3_f,comdat
	.globl	_ZN2at6native12_GLOBAL__N_128upsample_nearest1d_out_frameIfXadL_ZNS0_37nearest_neighbor_compute_source_indexEfiiEEEEvPKT_mmmmPS3_f ; -- Begin function _ZN2at6native12_GLOBAL__N_128upsample_nearest1d_out_frameIfXadL_ZNS0_37nearest_neighbor_compute_source_indexEfiiEEEEvPKT_mmmmPS3_f
	.p2align	8
	.type	_ZN2at6native12_GLOBAL__N_128upsample_nearest1d_out_frameIfXadL_ZNS0_37nearest_neighbor_compute_source_indexEfiiEEEEvPKT_mmmmPS3_f,@function
_ZN2at6native12_GLOBAL__N_128upsample_nearest1d_out_frameIfXadL_ZNS0_37nearest_neighbor_compute_source_indexEfiiEEEEvPKT_mmmmPS3_f: ; @_ZN2at6native12_GLOBAL__N_128upsample_nearest1d_out_frameIfXadL_ZNS0_37nearest_neighbor_compute_source_indexEfiiEEEEvPKT_mmmmPS3_f
; %bb.0:
	s_load_dword s0, s[4:5], 0x44
	s_load_dwordx4 s[16:19], s[4:5], 0x20
	s_load_dwordx8 s[8:15], s[4:5], 0x0
	s_waitcnt lgkmcnt(0)
	s_and_b32 s0, s0, 0xffff
	s_mul_i32 s6, s6, s0
	s_mul_i32 s0, s16, s13
	s_mul_hi_u32 s1, s16, s12
	v_add_u32_e32 v0, s6, v0
	s_add_i32 s0, s1, s0
	s_mul_i32 s1, s17, s12
	v_ashrrev_i32_e32 v1, 31, v0
	s_add_i32 s3, s0, s1
	s_mul_i32 s2, s16, s12
	v_cmp_gt_u64_e32 vcc, s[2:3], v[0:1]
	s_and_saveexec_b64 s[0:1], vcc
	s_cbranch_execz .LBB1_12
; %bb.1:
	s_cmp_eq_u64 s[10:11], 0
	s_cbranch_scc1 .LBB1_12
; %bb.2:
	v_or_b32_e32 v3, s17, v1
	v_mov_b32_e32 v2, 0
	v_cmp_ne_u64_e32 vcc, 0, v[2:3]
                                        ; implicit-def: $vgpr2_vgpr3
	s_and_saveexec_b64 s[0:1], vcc
	s_xor_b64 s[6:7], exec, s[0:1]
	s_cbranch_execz .LBB1_4
; %bb.3:
	v_cvt_f32_u32_e32 v2, s16
	v_cvt_f32_u32_e32 v3, s17
	s_sub_u32 s15, 0, s16
	s_subb_u32 s20, 0, s17
	v_madmk_f32 v2, v3, 0x4f800000, v2
	v_rcp_f32_e32 v2, v2
	v_mul_f32_e32 v2, 0x5f7ffffc, v2
	v_mul_f32_e32 v3, 0x2f800000, v2
	v_trunc_f32_e32 v3, v3
	v_madmk_f32 v2, v3, 0xcf800000, v2
	v_cvt_u32_f32_e32 v3, v3
	v_cvt_u32_f32_e32 v2, v2
	v_readfirstlane_b32 s21, v3
	v_readfirstlane_b32 s0, v2
	s_mul_i32 s1, s15, s21
	s_mul_hi_u32 s23, s15, s0
	s_mul_i32 s22, s20, s0
	s_add_i32 s1, s23, s1
	s_mul_i32 s24, s15, s0
	s_add_i32 s1, s1, s22
	s_mul_i32 s23, s0, s1
	s_mul_hi_u32 s25, s0, s24
	s_mul_hi_u32 s22, s0, s1
	s_add_u32 s23, s25, s23
	s_addc_u32 s22, 0, s22
	s_mul_hi_u32 s26, s21, s24
	s_mul_i32 s24, s21, s24
	s_add_u32 s23, s23, s24
	s_mul_hi_u32 s25, s21, s1
	s_addc_u32 s22, s22, s26
	s_addc_u32 s23, s25, 0
	s_mul_i32 s1, s21, s1
	s_add_u32 s1, s22, s1
	s_addc_u32 s22, 0, s23
	s_add_u32 s23, s0, s1
	s_cselect_b64 s[0:1], -1, 0
	s_cmp_lg_u64 s[0:1], 0
	s_addc_u32 s21, s21, s22
	s_mul_i32 s0, s15, s21
	s_mul_hi_u32 s1, s15, s23
	s_add_i32 s0, s1, s0
	s_mul_i32 s20, s20, s23
	s_add_i32 s0, s0, s20
	s_mul_i32 s15, s15, s23
	s_mul_hi_u32 s20, s21, s15
	s_mul_i32 s22, s21, s15
	s_mul_i32 s25, s23, s0
	s_mul_hi_u32 s15, s23, s15
	s_mul_hi_u32 s24, s23, s0
	s_add_u32 s15, s15, s25
	s_addc_u32 s24, 0, s24
	s_add_u32 s15, s15, s22
	s_mul_hi_u32 s1, s21, s0
	s_addc_u32 s15, s24, s20
	s_addc_u32 s1, s1, 0
	s_mul_i32 s0, s21, s0
	s_add_u32 s0, s15, s0
	s_addc_u32 s15, 0, s1
	s_add_u32 s20, s23, s0
	s_cselect_b64 s[0:1], -1, 0
	s_cmp_lg_u64 s[0:1], 0
	s_addc_u32 s15, s21, s15
	v_mad_u64_u32 v[2:3], s[0:1], v0, s15, 0
	v_mul_hi_u32 v4, v0, s20
	v_add_co_u32_e32 v6, vcc, v4, v2
	v_addc_co_u32_e32 v7, vcc, 0, v3, vcc
	v_mad_u64_u32 v[2:3], s[0:1], v1, s20, 0
	v_mad_u64_u32 v[4:5], s[0:1], v1, s15, 0
	v_add_co_u32_e32 v2, vcc, v6, v2
	v_addc_co_u32_e32 v2, vcc, v7, v3, vcc
	v_addc_co_u32_e32 v3, vcc, 0, v5, vcc
	v_add_co_u32_e32 v4, vcc, v2, v4
	v_addc_co_u32_e32 v5, vcc, 0, v3, vcc
	v_mul_lo_u32 v6, s17, v4
	v_mul_lo_u32 v7, s16, v5
	v_mad_u64_u32 v[2:3], s[0:1], s16, v4, 0
	v_add3_u32 v3, v3, v7, v6
	v_sub_u32_e32 v6, v1, v3
	v_mov_b32_e32 v7, s17
	v_sub_co_u32_e32 v2, vcc, v0, v2
	v_subb_co_u32_e64 v6, s[0:1], v6, v7, vcc
	v_subrev_co_u32_e64 v7, s[0:1], s16, v2
	v_subbrev_co_u32_e64 v6, s[0:1], 0, v6, s[0:1]
	v_cmp_le_u32_e64 s[0:1], s17, v6
	v_cndmask_b32_e64 v8, 0, -1, s[0:1]
	v_cmp_le_u32_e64 s[0:1], s16, v7
	v_cndmask_b32_e64 v7, 0, -1, s[0:1]
	v_cmp_eq_u32_e64 s[0:1], s17, v6
	v_cndmask_b32_e64 v6, v8, v7, s[0:1]
	v_add_co_u32_e64 v7, s[0:1], 2, v4
	v_addc_co_u32_e64 v8, s[0:1], 0, v5, s[0:1]
	v_add_co_u32_e64 v9, s[0:1], 1, v4
	v_addc_co_u32_e64 v10, s[0:1], 0, v5, s[0:1]
	v_subb_co_u32_e32 v3, vcc, v1, v3, vcc
	v_cmp_ne_u32_e64 s[0:1], 0, v6
	v_cmp_le_u32_e32 vcc, s17, v3
	v_cndmask_b32_e64 v6, v10, v8, s[0:1]
	v_cndmask_b32_e64 v8, 0, -1, vcc
	v_cmp_le_u32_e32 vcc, s16, v2
	v_cndmask_b32_e64 v2, 0, -1, vcc
	v_cmp_eq_u32_e32 vcc, s17, v3
	v_cndmask_b32_e32 v2, v8, v2, vcc
	v_cmp_ne_u32_e32 vcc, 0, v2
	v_cndmask_b32_e64 v2, v9, v7, s[0:1]
	v_cndmask_b32_e32 v3, v5, v6, vcc
	v_cndmask_b32_e32 v2, v4, v2, vcc
.LBB1_4:
	s_andn2_saveexec_b64 s[0:1], s[6:7]
	s_cbranch_execz .LBB1_6
; %bb.5:
	v_cvt_f32_u32_e32 v2, s16
	s_sub_i32 s6, 0, s16
	v_rcp_iflag_f32_e32 v2, v2
	v_mul_f32_e32 v2, 0x4f7ffffe, v2
	v_cvt_u32_f32_e32 v2, v2
	v_mul_lo_u32 v3, s6, v2
	v_mul_hi_u32 v3, v2, v3
	v_add_u32_e32 v2, v2, v3
	v_mul_hi_u32 v2, v0, v2
	v_mul_lo_u32 v3, v2, s16
	v_add_u32_e32 v4, 1, v2
	v_sub_u32_e32 v3, v0, v3
	v_subrev_u32_e32 v5, s16, v3
	v_cmp_le_u32_e32 vcc, s16, v3
	v_cndmask_b32_e32 v3, v3, v5, vcc
	v_cndmask_b32_e32 v2, v2, v4, vcc
	v_add_u32_e32 v4, 1, v2
	v_cmp_le_u32_e32 vcc, s16, v3
	v_cndmask_b32_e32 v2, v2, v4, vcc
	v_mov_b32_e32 v3, 0
.LBB1_6:
	s_or_b64 exec, exec, s[0:1]
	v_or_b32_e32 v5, s13, v3
	v_mov_b32_e32 v4, 0
	v_cmp_ne_u64_e32 vcc, 0, v[4:5]
                                        ; implicit-def: $vgpr4_vgpr5
	s_and_saveexec_b64 s[0:1], vcc
	s_xor_b64 s[6:7], exec, s[0:1]
	s_cbranch_execz .LBB1_8
; %bb.7:
	v_cvt_f32_u32_e32 v4, s12
	v_cvt_f32_u32_e32 v5, s13
	s_sub_u32 s15, 0, s12
	s_subb_u32 s17, 0, s13
	v_madmk_f32 v4, v5, 0x4f800000, v4
	v_rcp_f32_e32 v4, v4
	v_mul_f32_e32 v4, 0x5f7ffffc, v4
	v_mul_f32_e32 v5, 0x2f800000, v4
	v_trunc_f32_e32 v5, v5
	v_madmk_f32 v4, v5, 0xcf800000, v4
	v_cvt_u32_f32_e32 v5, v5
	v_cvt_u32_f32_e32 v4, v4
	v_readfirstlane_b32 s20, v5
	v_readfirstlane_b32 s0, v4
	s_mul_i32 s1, s15, s20
	s_mul_hi_u32 s22, s15, s0
	s_mul_i32 s21, s17, s0
	s_add_i32 s1, s22, s1
	s_mul_i32 s23, s15, s0
	s_add_i32 s1, s1, s21
	s_mul_i32 s22, s0, s1
	s_mul_hi_u32 s24, s0, s23
	s_mul_hi_u32 s21, s0, s1
	s_add_u32 s22, s24, s22
	s_addc_u32 s21, 0, s21
	s_mul_hi_u32 s25, s20, s23
	s_mul_i32 s23, s20, s23
	s_add_u32 s22, s22, s23
	s_mul_hi_u32 s24, s20, s1
	s_addc_u32 s21, s21, s25
	s_addc_u32 s22, s24, 0
	s_mul_i32 s1, s20, s1
	s_add_u32 s1, s21, s1
	s_addc_u32 s21, 0, s22
	s_add_u32 s22, s0, s1
	s_cselect_b64 s[0:1], -1, 0
	s_cmp_lg_u64 s[0:1], 0
	s_addc_u32 s20, s20, s21
	s_mul_i32 s0, s15, s20
	s_mul_hi_u32 s1, s15, s22
	s_add_i32 s0, s1, s0
	s_mul_i32 s17, s17, s22
	s_add_i32 s0, s0, s17
	s_mul_i32 s15, s15, s22
	s_mul_hi_u32 s17, s20, s15
	s_mul_i32 s21, s20, s15
	s_mul_i32 s24, s22, s0
	s_mul_hi_u32 s15, s22, s15
	s_mul_hi_u32 s23, s22, s0
	s_add_u32 s15, s15, s24
	s_addc_u32 s23, 0, s23
	s_add_u32 s15, s15, s21
	s_mul_hi_u32 s1, s20, s0
	s_addc_u32 s15, s23, s17
	s_addc_u32 s1, s1, 0
	s_mul_i32 s0, s20, s0
	s_add_u32 s0, s15, s0
	s_addc_u32 s15, 0, s1
	s_add_u32 s17, s22, s0
	s_cselect_b64 s[0:1], -1, 0
	s_cmp_lg_u64 s[0:1], 0
	s_addc_u32 s15, s20, s15
	v_mad_u64_u32 v[4:5], s[0:1], v2, s15, 0
	v_mul_hi_u32 v6, v2, s17
	v_add_co_u32_e32 v8, vcc, v6, v4
	v_addc_co_u32_e32 v9, vcc, 0, v5, vcc
	v_mad_u64_u32 v[4:5], s[0:1], v3, s17, 0
	v_mad_u64_u32 v[6:7], s[0:1], v3, s15, 0
	v_add_co_u32_e32 v4, vcc, v8, v4
	v_addc_co_u32_e32 v4, vcc, v9, v5, vcc
	v_addc_co_u32_e32 v5, vcc, 0, v7, vcc
	v_add_co_u32_e32 v4, vcc, v4, v6
	v_addc_co_u32_e32 v5, vcc, 0, v5, vcc
	v_mul_lo_u32 v6, s13, v4
	v_mul_lo_u32 v7, s12, v5
	v_mad_u64_u32 v[4:5], s[0:1], s12, v4, 0
	v_add3_u32 v5, v5, v7, v6
	v_sub_u32_e32 v6, v3, v5
	v_mov_b32_e32 v7, s13
	v_sub_co_u32_e32 v4, vcc, v2, v4
	v_subb_co_u32_e64 v6, s[0:1], v6, v7, vcc
	v_subrev_co_u32_e64 v7, s[0:1], s12, v4
	v_subbrev_co_u32_e64 v6, s[0:1], 0, v6, s[0:1]
	v_cmp_le_u32_e64 s[0:1], s13, v6
	v_subb_co_u32_e32 v3, vcc, v3, v5, vcc
	v_cndmask_b32_e64 v8, 0, -1, s[0:1]
	v_cmp_le_u32_e64 s[0:1], s12, v7
	v_cmp_le_u32_e32 vcc, s13, v3
	v_cndmask_b32_e64 v9, 0, -1, s[0:1]
	v_cmp_eq_u32_e64 s[0:1], s13, v6
	v_cndmask_b32_e64 v5, 0, -1, vcc
	v_cmp_le_u32_e32 vcc, s12, v4
	v_cndmask_b32_e64 v6, v8, v9, s[0:1]
	v_cndmask_b32_e64 v9, 0, -1, vcc
	v_cmp_eq_u32_e32 vcc, s13, v3
	v_subrev_co_u32_e64 v8, s[0:1], s12, v7
	v_cndmask_b32_e32 v3, v5, v9, vcc
	v_cmp_ne_u32_e32 vcc, 0, v6
	v_cndmask_b32_e32 v5, v7, v8, vcc
	v_cmp_ne_u32_e32 vcc, 0, v3
	v_cndmask_b32_e32 v4, v4, v5, vcc
.LBB1_8:
	s_andn2_saveexec_b64 s[0:1], s[6:7]
	s_cbranch_execz .LBB1_10
; %bb.9:
	v_cvt_f32_u32_e32 v3, s12
	s_sub_i32 s6, 0, s12
	v_rcp_iflag_f32_e32 v3, v3
	v_mul_f32_e32 v3, 0x4f7ffffe, v3
	v_cvt_u32_f32_e32 v3, v3
	v_mul_lo_u32 v4, s6, v3
	v_mul_hi_u32 v4, v3, v4
	v_add_u32_e32 v3, v3, v4
	v_mul_hi_u32 v3, v2, v3
	v_mul_lo_u32 v3, v3, s12
	v_sub_u32_e32 v3, v2, v3
	v_subrev_u32_e32 v4, s12, v3
	v_cmp_le_u32_e32 vcc, s12, v3
	v_cndmask_b32_e32 v3, v3, v4, vcc
	v_subrev_u32_e32 v4, s12, v3
	v_cmp_le_u32_e32 vcc, s12, v3
	v_cndmask_b32_e32 v4, v3, v4, vcc
.LBB1_10:
	s_or_b64 exec, exec, s[0:1]
	v_mul_lo_u32 v2, v2, s16
	s_load_dword s0, s[4:5], 0x30
	s_add_i32 s1, s14, -1
	v_mov_b32_e32 v6, s19
	v_sub_u32_e32 v2, v0, v2
	v_cvt_f32_i32_e32 v2, v2
	s_mul_i32 s6, s14, s12
	s_mov_b64 s[4:5], 0
	s_waitcnt lgkmcnt(0)
	v_mul_f32_e32 v2, s0, v2
	v_floor_f32_e32 v2, v2
	v_cvt_i32_f32_e32 v5, v2
	v_lshlrev_b64 v[2:3], 2, v[0:1]
	v_add_co_u32_e32 v2, vcc, s18, v2
	v_min_i32_e32 v0, s1, v5
	v_mad_u64_u32 v[0:1], s[0:1], v4, s14, v[0:1]
	s_bfe_i64 s[0:1], s[2:3], 0x200000
	s_lshl_b64 s[2:3], s[0:1], 2
	v_addc_co_u32_e32 v3, vcc, v6, v3, vcc
	v_mov_b32_e32 v4, s9
	v_mov_b32_e32 v5, s3
.LBB1_11:                               ; =>This Inner Loop Header: Depth=1
	v_ashrrev_i32_e32 v1, 31, v0
	v_lshlrev_b64 v[6:7], 2, v[0:1]
	s_add_u32 s4, s4, 1
	v_add_co_u32_e32 v6, vcc, s8, v6
	v_addc_co_u32_e32 v7, vcc, v4, v7, vcc
	global_load_dword v1, v[6:7], off
	s_addc_u32 s5, s5, 0
	v_mov_b32_e32 v7, s5
	v_mov_b32_e32 v6, s4
	v_cmp_gt_u64_e32 vcc, s[10:11], v[6:7]
	v_add_u32_e32 v0, s6, v0
	s_and_b64 vcc, exec, vcc
	s_waitcnt vmcnt(0)
	global_store_dword v[2:3], v1, off
	v_add_co_u32_e64 v2, s[0:1], s2, v2
	v_addc_co_u32_e64 v3, s[0:1], v3, v5, s[0:1]
	s_cbranch_vccnz .LBB1_11
.LBB1_12:
	s_endpgm
	.section	.rodata,"a",@progbits
	.p2align	6, 0x0
	.amdhsa_kernel _ZN2at6native12_GLOBAL__N_128upsample_nearest1d_out_frameIfXadL_ZNS0_37nearest_neighbor_compute_source_indexEfiiEEEEvPKT_mmmmPS3_f
		.amdhsa_group_segment_fixed_size 0
		.amdhsa_private_segment_fixed_size 0
		.amdhsa_kernarg_size 312
		.amdhsa_user_sgpr_count 6
		.amdhsa_user_sgpr_private_segment_buffer 1
		.amdhsa_user_sgpr_dispatch_ptr 0
		.amdhsa_user_sgpr_queue_ptr 0
		.amdhsa_user_sgpr_kernarg_segment_ptr 1
		.amdhsa_user_sgpr_dispatch_id 0
		.amdhsa_user_sgpr_flat_scratch_init 0
		.amdhsa_user_sgpr_private_segment_size 0
		.amdhsa_uses_dynamic_stack 0
		.amdhsa_system_sgpr_private_segment_wavefront_offset 0
		.amdhsa_system_sgpr_workgroup_id_x 1
		.amdhsa_system_sgpr_workgroup_id_y 0
		.amdhsa_system_sgpr_workgroup_id_z 0
		.amdhsa_system_sgpr_workgroup_info 0
		.amdhsa_system_vgpr_workitem_id 0
		.amdhsa_next_free_vgpr 11
		.amdhsa_next_free_sgpr 27
		.amdhsa_reserve_vcc 1
		.amdhsa_reserve_flat_scratch 0
		.amdhsa_float_round_mode_32 0
		.amdhsa_float_round_mode_16_64 0
		.amdhsa_float_denorm_mode_32 3
		.amdhsa_float_denorm_mode_16_64 3
		.amdhsa_dx10_clamp 1
		.amdhsa_ieee_mode 1
		.amdhsa_fp16_overflow 0
		.amdhsa_exception_fp_ieee_invalid_op 0
		.amdhsa_exception_fp_denorm_src 0
		.amdhsa_exception_fp_ieee_div_zero 0
		.amdhsa_exception_fp_ieee_overflow 0
		.amdhsa_exception_fp_ieee_underflow 0
		.amdhsa_exception_fp_ieee_inexact 0
		.amdhsa_exception_int_div_zero 0
	.end_amdhsa_kernel
	.section	.text._ZN2at6native12_GLOBAL__N_128upsample_nearest1d_out_frameIfXadL_ZNS0_37nearest_neighbor_compute_source_indexEfiiEEEEvPKT_mmmmPS3_f,"axG",@progbits,_ZN2at6native12_GLOBAL__N_128upsample_nearest1d_out_frameIfXadL_ZNS0_37nearest_neighbor_compute_source_indexEfiiEEEEvPKT_mmmmPS3_f,comdat
.Lfunc_end1:
	.size	_ZN2at6native12_GLOBAL__N_128upsample_nearest1d_out_frameIfXadL_ZNS0_37nearest_neighbor_compute_source_indexEfiiEEEEvPKT_mmmmPS3_f, .Lfunc_end1-_ZN2at6native12_GLOBAL__N_128upsample_nearest1d_out_frameIfXadL_ZNS0_37nearest_neighbor_compute_source_indexEfiiEEEEvPKT_mmmmPS3_f
                                        ; -- End function
	.set _ZN2at6native12_GLOBAL__N_128upsample_nearest1d_out_frameIfXadL_ZNS0_37nearest_neighbor_compute_source_indexEfiiEEEEvPKT_mmmmPS3_f.num_vgpr, 11
	.set _ZN2at6native12_GLOBAL__N_128upsample_nearest1d_out_frameIfXadL_ZNS0_37nearest_neighbor_compute_source_indexEfiiEEEEvPKT_mmmmPS3_f.num_agpr, 0
	.set _ZN2at6native12_GLOBAL__N_128upsample_nearest1d_out_frameIfXadL_ZNS0_37nearest_neighbor_compute_source_indexEfiiEEEEvPKT_mmmmPS3_f.numbered_sgpr, 27
	.set _ZN2at6native12_GLOBAL__N_128upsample_nearest1d_out_frameIfXadL_ZNS0_37nearest_neighbor_compute_source_indexEfiiEEEEvPKT_mmmmPS3_f.num_named_barrier, 0
	.set _ZN2at6native12_GLOBAL__N_128upsample_nearest1d_out_frameIfXadL_ZNS0_37nearest_neighbor_compute_source_indexEfiiEEEEvPKT_mmmmPS3_f.private_seg_size, 0
	.set _ZN2at6native12_GLOBAL__N_128upsample_nearest1d_out_frameIfXadL_ZNS0_37nearest_neighbor_compute_source_indexEfiiEEEEvPKT_mmmmPS3_f.uses_vcc, 1
	.set _ZN2at6native12_GLOBAL__N_128upsample_nearest1d_out_frameIfXadL_ZNS0_37nearest_neighbor_compute_source_indexEfiiEEEEvPKT_mmmmPS3_f.uses_flat_scratch, 0
	.set _ZN2at6native12_GLOBAL__N_128upsample_nearest1d_out_frameIfXadL_ZNS0_37nearest_neighbor_compute_source_indexEfiiEEEEvPKT_mmmmPS3_f.has_dyn_sized_stack, 0
	.set _ZN2at6native12_GLOBAL__N_128upsample_nearest1d_out_frameIfXadL_ZNS0_37nearest_neighbor_compute_source_indexEfiiEEEEvPKT_mmmmPS3_f.has_recursion, 0
	.set _ZN2at6native12_GLOBAL__N_128upsample_nearest1d_out_frameIfXadL_ZNS0_37nearest_neighbor_compute_source_indexEfiiEEEEvPKT_mmmmPS3_f.has_indirect_call, 0
	.section	.AMDGPU.csdata,"",@progbits
; Kernel info:
; codeLenInByte = 1608
; TotalNumSgprs: 31
; NumVgprs: 11
; ScratchSize: 0
; MemoryBound: 0
; FloatMode: 240
; IeeeMode: 1
; LDSByteSize: 0 bytes/workgroup (compile time only)
; SGPRBlocks: 3
; VGPRBlocks: 2
; NumSGPRsForWavesPerEU: 31
; NumVGPRsForWavesPerEU: 11
; Occupancy: 10
; WaveLimiterHint : 0
; COMPUTE_PGM_RSRC2:SCRATCH_EN: 0
; COMPUTE_PGM_RSRC2:USER_SGPR: 6
; COMPUTE_PGM_RSRC2:TRAP_HANDLER: 0
; COMPUTE_PGM_RSRC2:TGID_X_EN: 1
; COMPUTE_PGM_RSRC2:TGID_Y_EN: 0
; COMPUTE_PGM_RSRC2:TGID_Z_EN: 0
; COMPUTE_PGM_RSRC2:TIDIG_COMP_CNT: 0
	.section	.text._ZN2at6native12_GLOBAL__N_128upsample_nearest1d_out_frameIN3c104HalfEXadL_ZNS0_37nearest_neighbor_compute_source_indexEfiiEEEEvPKT_mmmmPS5_f,"axG",@progbits,_ZN2at6native12_GLOBAL__N_128upsample_nearest1d_out_frameIN3c104HalfEXadL_ZNS0_37nearest_neighbor_compute_source_indexEfiiEEEEvPKT_mmmmPS5_f,comdat
	.globl	_ZN2at6native12_GLOBAL__N_128upsample_nearest1d_out_frameIN3c104HalfEXadL_ZNS0_37nearest_neighbor_compute_source_indexEfiiEEEEvPKT_mmmmPS5_f ; -- Begin function _ZN2at6native12_GLOBAL__N_128upsample_nearest1d_out_frameIN3c104HalfEXadL_ZNS0_37nearest_neighbor_compute_source_indexEfiiEEEEvPKT_mmmmPS5_f
	.p2align	8
	.type	_ZN2at6native12_GLOBAL__N_128upsample_nearest1d_out_frameIN3c104HalfEXadL_ZNS0_37nearest_neighbor_compute_source_indexEfiiEEEEvPKT_mmmmPS5_f,@function
_ZN2at6native12_GLOBAL__N_128upsample_nearest1d_out_frameIN3c104HalfEXadL_ZNS0_37nearest_neighbor_compute_source_indexEfiiEEEEvPKT_mmmmPS5_f: ; @_ZN2at6native12_GLOBAL__N_128upsample_nearest1d_out_frameIN3c104HalfEXadL_ZNS0_37nearest_neighbor_compute_source_indexEfiiEEEEvPKT_mmmmPS5_f
; %bb.0:
	s_load_dword s0, s[4:5], 0x44
	s_load_dwordx4 s[16:19], s[4:5], 0x20
	s_load_dwordx8 s[8:15], s[4:5], 0x0
	s_waitcnt lgkmcnt(0)
	s_and_b32 s0, s0, 0xffff
	s_mul_i32 s6, s6, s0
	s_mul_i32 s0, s16, s13
	s_mul_hi_u32 s1, s16, s12
	v_add_u32_e32 v0, s6, v0
	s_add_i32 s0, s1, s0
	s_mul_i32 s1, s17, s12
	v_ashrrev_i32_e32 v1, 31, v0
	s_add_i32 s3, s0, s1
	s_mul_i32 s2, s16, s12
	v_cmp_gt_u64_e32 vcc, s[2:3], v[0:1]
	s_and_saveexec_b64 s[0:1], vcc
	s_cbranch_execz .LBB2_12
; %bb.1:
	s_cmp_eq_u64 s[10:11], 0
	s_cbranch_scc1 .LBB2_12
; %bb.2:
	v_or_b32_e32 v3, s17, v1
	v_mov_b32_e32 v2, 0
	v_cmp_ne_u64_e32 vcc, 0, v[2:3]
                                        ; implicit-def: $vgpr2_vgpr3
	s_and_saveexec_b64 s[0:1], vcc
	s_xor_b64 s[6:7], exec, s[0:1]
	s_cbranch_execz .LBB2_4
; %bb.3:
	v_cvt_f32_u32_e32 v2, s16
	v_cvt_f32_u32_e32 v3, s17
	s_sub_u32 s15, 0, s16
	s_subb_u32 s20, 0, s17
	v_madmk_f32 v2, v3, 0x4f800000, v2
	v_rcp_f32_e32 v2, v2
	v_mul_f32_e32 v2, 0x5f7ffffc, v2
	v_mul_f32_e32 v3, 0x2f800000, v2
	v_trunc_f32_e32 v3, v3
	v_madmk_f32 v2, v3, 0xcf800000, v2
	v_cvt_u32_f32_e32 v3, v3
	v_cvt_u32_f32_e32 v2, v2
	v_readfirstlane_b32 s21, v3
	v_readfirstlane_b32 s0, v2
	s_mul_i32 s1, s15, s21
	s_mul_hi_u32 s23, s15, s0
	s_mul_i32 s22, s20, s0
	s_add_i32 s1, s23, s1
	s_mul_i32 s24, s15, s0
	s_add_i32 s1, s1, s22
	s_mul_i32 s23, s0, s1
	s_mul_hi_u32 s25, s0, s24
	s_mul_hi_u32 s22, s0, s1
	s_add_u32 s23, s25, s23
	s_addc_u32 s22, 0, s22
	s_mul_hi_u32 s26, s21, s24
	s_mul_i32 s24, s21, s24
	s_add_u32 s23, s23, s24
	s_mul_hi_u32 s25, s21, s1
	s_addc_u32 s22, s22, s26
	s_addc_u32 s23, s25, 0
	s_mul_i32 s1, s21, s1
	s_add_u32 s1, s22, s1
	s_addc_u32 s22, 0, s23
	s_add_u32 s23, s0, s1
	s_cselect_b64 s[0:1], -1, 0
	s_cmp_lg_u64 s[0:1], 0
	s_addc_u32 s21, s21, s22
	s_mul_i32 s0, s15, s21
	s_mul_hi_u32 s1, s15, s23
	s_add_i32 s0, s1, s0
	s_mul_i32 s20, s20, s23
	s_add_i32 s0, s0, s20
	s_mul_i32 s15, s15, s23
	s_mul_hi_u32 s20, s21, s15
	s_mul_i32 s22, s21, s15
	s_mul_i32 s25, s23, s0
	s_mul_hi_u32 s15, s23, s15
	s_mul_hi_u32 s24, s23, s0
	s_add_u32 s15, s15, s25
	s_addc_u32 s24, 0, s24
	s_add_u32 s15, s15, s22
	s_mul_hi_u32 s1, s21, s0
	s_addc_u32 s15, s24, s20
	s_addc_u32 s1, s1, 0
	s_mul_i32 s0, s21, s0
	s_add_u32 s0, s15, s0
	s_addc_u32 s15, 0, s1
	s_add_u32 s20, s23, s0
	s_cselect_b64 s[0:1], -1, 0
	s_cmp_lg_u64 s[0:1], 0
	s_addc_u32 s15, s21, s15
	v_mad_u64_u32 v[2:3], s[0:1], v0, s15, 0
	v_mul_hi_u32 v4, v0, s20
	v_add_co_u32_e32 v6, vcc, v4, v2
	v_addc_co_u32_e32 v7, vcc, 0, v3, vcc
	v_mad_u64_u32 v[2:3], s[0:1], v1, s20, 0
	v_mad_u64_u32 v[4:5], s[0:1], v1, s15, 0
	v_add_co_u32_e32 v2, vcc, v6, v2
	v_addc_co_u32_e32 v2, vcc, v7, v3, vcc
	v_addc_co_u32_e32 v3, vcc, 0, v5, vcc
	v_add_co_u32_e32 v4, vcc, v2, v4
	v_addc_co_u32_e32 v5, vcc, 0, v3, vcc
	v_mul_lo_u32 v6, s17, v4
	v_mul_lo_u32 v7, s16, v5
	v_mad_u64_u32 v[2:3], s[0:1], s16, v4, 0
	v_add3_u32 v3, v3, v7, v6
	v_sub_u32_e32 v6, v1, v3
	v_mov_b32_e32 v7, s17
	v_sub_co_u32_e32 v2, vcc, v0, v2
	v_subb_co_u32_e64 v6, s[0:1], v6, v7, vcc
	v_subrev_co_u32_e64 v7, s[0:1], s16, v2
	v_subbrev_co_u32_e64 v6, s[0:1], 0, v6, s[0:1]
	v_cmp_le_u32_e64 s[0:1], s17, v6
	v_cndmask_b32_e64 v8, 0, -1, s[0:1]
	v_cmp_le_u32_e64 s[0:1], s16, v7
	v_cndmask_b32_e64 v7, 0, -1, s[0:1]
	v_cmp_eq_u32_e64 s[0:1], s17, v6
	v_cndmask_b32_e64 v6, v8, v7, s[0:1]
	v_add_co_u32_e64 v7, s[0:1], 2, v4
	v_addc_co_u32_e64 v8, s[0:1], 0, v5, s[0:1]
	v_add_co_u32_e64 v9, s[0:1], 1, v4
	v_addc_co_u32_e64 v10, s[0:1], 0, v5, s[0:1]
	v_subb_co_u32_e32 v3, vcc, v1, v3, vcc
	v_cmp_ne_u32_e64 s[0:1], 0, v6
	v_cmp_le_u32_e32 vcc, s17, v3
	v_cndmask_b32_e64 v6, v10, v8, s[0:1]
	v_cndmask_b32_e64 v8, 0, -1, vcc
	v_cmp_le_u32_e32 vcc, s16, v2
	v_cndmask_b32_e64 v2, 0, -1, vcc
	v_cmp_eq_u32_e32 vcc, s17, v3
	v_cndmask_b32_e32 v2, v8, v2, vcc
	v_cmp_ne_u32_e32 vcc, 0, v2
	v_cndmask_b32_e64 v2, v9, v7, s[0:1]
	v_cndmask_b32_e32 v3, v5, v6, vcc
	v_cndmask_b32_e32 v2, v4, v2, vcc
.LBB2_4:
	s_andn2_saveexec_b64 s[0:1], s[6:7]
	s_cbranch_execz .LBB2_6
; %bb.5:
	v_cvt_f32_u32_e32 v2, s16
	s_sub_i32 s6, 0, s16
	v_rcp_iflag_f32_e32 v2, v2
	v_mul_f32_e32 v2, 0x4f7ffffe, v2
	v_cvt_u32_f32_e32 v2, v2
	v_mul_lo_u32 v3, s6, v2
	v_mul_hi_u32 v3, v2, v3
	v_add_u32_e32 v2, v2, v3
	v_mul_hi_u32 v2, v0, v2
	v_mul_lo_u32 v3, v2, s16
	v_add_u32_e32 v4, 1, v2
	v_sub_u32_e32 v3, v0, v3
	v_subrev_u32_e32 v5, s16, v3
	v_cmp_le_u32_e32 vcc, s16, v3
	v_cndmask_b32_e32 v3, v3, v5, vcc
	v_cndmask_b32_e32 v2, v2, v4, vcc
	v_add_u32_e32 v4, 1, v2
	v_cmp_le_u32_e32 vcc, s16, v3
	v_cndmask_b32_e32 v2, v2, v4, vcc
	v_mov_b32_e32 v3, 0
.LBB2_6:
	s_or_b64 exec, exec, s[0:1]
	v_or_b32_e32 v5, s13, v3
	v_mov_b32_e32 v4, 0
	v_cmp_ne_u64_e32 vcc, 0, v[4:5]
                                        ; implicit-def: $vgpr4_vgpr5
	s_and_saveexec_b64 s[0:1], vcc
	s_xor_b64 s[6:7], exec, s[0:1]
	s_cbranch_execz .LBB2_8
; %bb.7:
	v_cvt_f32_u32_e32 v4, s12
	v_cvt_f32_u32_e32 v5, s13
	s_sub_u32 s15, 0, s12
	s_subb_u32 s17, 0, s13
	v_madmk_f32 v4, v5, 0x4f800000, v4
	v_rcp_f32_e32 v4, v4
	v_mul_f32_e32 v4, 0x5f7ffffc, v4
	v_mul_f32_e32 v5, 0x2f800000, v4
	v_trunc_f32_e32 v5, v5
	v_madmk_f32 v4, v5, 0xcf800000, v4
	v_cvt_u32_f32_e32 v5, v5
	v_cvt_u32_f32_e32 v4, v4
	v_readfirstlane_b32 s20, v5
	v_readfirstlane_b32 s0, v4
	s_mul_i32 s1, s15, s20
	s_mul_hi_u32 s22, s15, s0
	s_mul_i32 s21, s17, s0
	s_add_i32 s1, s22, s1
	s_mul_i32 s23, s15, s0
	s_add_i32 s1, s1, s21
	s_mul_i32 s22, s0, s1
	s_mul_hi_u32 s24, s0, s23
	s_mul_hi_u32 s21, s0, s1
	s_add_u32 s22, s24, s22
	s_addc_u32 s21, 0, s21
	s_mul_hi_u32 s25, s20, s23
	s_mul_i32 s23, s20, s23
	s_add_u32 s22, s22, s23
	s_mul_hi_u32 s24, s20, s1
	s_addc_u32 s21, s21, s25
	s_addc_u32 s22, s24, 0
	s_mul_i32 s1, s20, s1
	s_add_u32 s1, s21, s1
	s_addc_u32 s21, 0, s22
	s_add_u32 s22, s0, s1
	s_cselect_b64 s[0:1], -1, 0
	s_cmp_lg_u64 s[0:1], 0
	s_addc_u32 s20, s20, s21
	s_mul_i32 s0, s15, s20
	s_mul_hi_u32 s1, s15, s22
	s_add_i32 s0, s1, s0
	s_mul_i32 s17, s17, s22
	s_add_i32 s0, s0, s17
	s_mul_i32 s15, s15, s22
	s_mul_hi_u32 s17, s20, s15
	s_mul_i32 s21, s20, s15
	s_mul_i32 s24, s22, s0
	s_mul_hi_u32 s15, s22, s15
	s_mul_hi_u32 s23, s22, s0
	s_add_u32 s15, s15, s24
	s_addc_u32 s23, 0, s23
	s_add_u32 s15, s15, s21
	s_mul_hi_u32 s1, s20, s0
	s_addc_u32 s15, s23, s17
	s_addc_u32 s1, s1, 0
	s_mul_i32 s0, s20, s0
	s_add_u32 s0, s15, s0
	s_addc_u32 s15, 0, s1
	s_add_u32 s17, s22, s0
	s_cselect_b64 s[0:1], -1, 0
	s_cmp_lg_u64 s[0:1], 0
	s_addc_u32 s15, s20, s15
	v_mad_u64_u32 v[4:5], s[0:1], v2, s15, 0
	v_mul_hi_u32 v6, v2, s17
	v_add_co_u32_e32 v8, vcc, v6, v4
	v_addc_co_u32_e32 v9, vcc, 0, v5, vcc
	v_mad_u64_u32 v[4:5], s[0:1], v3, s17, 0
	v_mad_u64_u32 v[6:7], s[0:1], v3, s15, 0
	v_add_co_u32_e32 v4, vcc, v8, v4
	v_addc_co_u32_e32 v4, vcc, v9, v5, vcc
	v_addc_co_u32_e32 v5, vcc, 0, v7, vcc
	v_add_co_u32_e32 v4, vcc, v4, v6
	v_addc_co_u32_e32 v5, vcc, 0, v5, vcc
	v_mul_lo_u32 v6, s13, v4
	v_mul_lo_u32 v7, s12, v5
	v_mad_u64_u32 v[4:5], s[0:1], s12, v4, 0
	v_add3_u32 v5, v5, v7, v6
	v_sub_u32_e32 v6, v3, v5
	v_mov_b32_e32 v7, s13
	v_sub_co_u32_e32 v4, vcc, v2, v4
	v_subb_co_u32_e64 v6, s[0:1], v6, v7, vcc
	v_subrev_co_u32_e64 v7, s[0:1], s12, v4
	v_subbrev_co_u32_e64 v6, s[0:1], 0, v6, s[0:1]
	v_cmp_le_u32_e64 s[0:1], s13, v6
	v_subb_co_u32_e32 v3, vcc, v3, v5, vcc
	v_cndmask_b32_e64 v8, 0, -1, s[0:1]
	v_cmp_le_u32_e64 s[0:1], s12, v7
	v_cmp_le_u32_e32 vcc, s13, v3
	v_cndmask_b32_e64 v9, 0, -1, s[0:1]
	v_cmp_eq_u32_e64 s[0:1], s13, v6
	v_cndmask_b32_e64 v5, 0, -1, vcc
	v_cmp_le_u32_e32 vcc, s12, v4
	v_cndmask_b32_e64 v6, v8, v9, s[0:1]
	v_cndmask_b32_e64 v9, 0, -1, vcc
	v_cmp_eq_u32_e32 vcc, s13, v3
	v_subrev_co_u32_e64 v8, s[0:1], s12, v7
	v_cndmask_b32_e32 v3, v5, v9, vcc
	v_cmp_ne_u32_e32 vcc, 0, v6
	v_cndmask_b32_e32 v5, v7, v8, vcc
	v_cmp_ne_u32_e32 vcc, 0, v3
	v_cndmask_b32_e32 v4, v4, v5, vcc
.LBB2_8:
	s_andn2_saveexec_b64 s[0:1], s[6:7]
	s_cbranch_execz .LBB2_10
; %bb.9:
	v_cvt_f32_u32_e32 v3, s12
	s_sub_i32 s6, 0, s12
	v_rcp_iflag_f32_e32 v3, v3
	v_mul_f32_e32 v3, 0x4f7ffffe, v3
	v_cvt_u32_f32_e32 v3, v3
	v_mul_lo_u32 v4, s6, v3
	v_mul_hi_u32 v4, v3, v4
	v_add_u32_e32 v3, v3, v4
	v_mul_hi_u32 v3, v2, v3
	v_mul_lo_u32 v3, v3, s12
	v_sub_u32_e32 v3, v2, v3
	v_subrev_u32_e32 v4, s12, v3
	v_cmp_le_u32_e32 vcc, s12, v3
	v_cndmask_b32_e32 v3, v3, v4, vcc
	v_subrev_u32_e32 v4, s12, v3
	v_cmp_le_u32_e32 vcc, s12, v3
	v_cndmask_b32_e32 v4, v3, v4, vcc
.LBB2_10:
	s_or_b64 exec, exec, s[0:1]
	v_mul_lo_u32 v2, v2, s16
	s_load_dword s0, s[4:5], 0x30
	s_add_i32 s1, s14, -1
	v_mov_b32_e32 v6, s19
	v_sub_u32_e32 v2, v0, v2
	v_cvt_f32_i32_e32 v2, v2
	s_mul_i32 s6, s14, s12
	s_mov_b64 s[4:5], 0
	s_waitcnt lgkmcnt(0)
	v_mul_f32_e32 v2, s0, v2
	v_floor_f32_e32 v2, v2
	v_cvt_i32_f32_e32 v5, v2
	v_lshlrev_b64 v[2:3], 1, v[0:1]
	v_add_co_u32_e32 v2, vcc, s18, v2
	v_min_i32_e32 v0, s1, v5
	v_mad_u64_u32 v[0:1], s[0:1], v4, s14, v[0:1]
	s_bfe_i64 s[0:1], s[2:3], 0x200000
	s_lshl_b64 s[2:3], s[0:1], 1
	v_addc_co_u32_e32 v3, vcc, v6, v3, vcc
	v_mov_b32_e32 v4, s9
	v_mov_b32_e32 v5, s3
.LBB2_11:                               ; =>This Inner Loop Header: Depth=1
	v_ashrrev_i32_e32 v1, 31, v0
	v_lshlrev_b64 v[6:7], 1, v[0:1]
	s_add_u32 s4, s4, 1
	v_add_co_u32_e32 v6, vcc, s8, v6
	v_addc_co_u32_e32 v7, vcc, v4, v7, vcc
	global_load_ushort v1, v[6:7], off
	s_addc_u32 s5, s5, 0
	v_mov_b32_e32 v7, s5
	v_mov_b32_e32 v6, s4
	v_cmp_gt_u64_e32 vcc, s[10:11], v[6:7]
	v_add_u32_e32 v0, s6, v0
	s_and_b64 vcc, exec, vcc
	s_waitcnt vmcnt(0)
	global_store_short v[2:3], v1, off
	v_add_co_u32_e64 v2, s[0:1], s2, v2
	v_addc_co_u32_e64 v3, s[0:1], v3, v5, s[0:1]
	s_cbranch_vccnz .LBB2_11
.LBB2_12:
	s_endpgm
	.section	.rodata,"a",@progbits
	.p2align	6, 0x0
	.amdhsa_kernel _ZN2at6native12_GLOBAL__N_128upsample_nearest1d_out_frameIN3c104HalfEXadL_ZNS0_37nearest_neighbor_compute_source_indexEfiiEEEEvPKT_mmmmPS5_f
		.amdhsa_group_segment_fixed_size 0
		.amdhsa_private_segment_fixed_size 0
		.amdhsa_kernarg_size 312
		.amdhsa_user_sgpr_count 6
		.amdhsa_user_sgpr_private_segment_buffer 1
		.amdhsa_user_sgpr_dispatch_ptr 0
		.amdhsa_user_sgpr_queue_ptr 0
		.amdhsa_user_sgpr_kernarg_segment_ptr 1
		.amdhsa_user_sgpr_dispatch_id 0
		.amdhsa_user_sgpr_flat_scratch_init 0
		.amdhsa_user_sgpr_private_segment_size 0
		.amdhsa_uses_dynamic_stack 0
		.amdhsa_system_sgpr_private_segment_wavefront_offset 0
		.amdhsa_system_sgpr_workgroup_id_x 1
		.amdhsa_system_sgpr_workgroup_id_y 0
		.amdhsa_system_sgpr_workgroup_id_z 0
		.amdhsa_system_sgpr_workgroup_info 0
		.amdhsa_system_vgpr_workitem_id 0
		.amdhsa_next_free_vgpr 11
		.amdhsa_next_free_sgpr 27
		.amdhsa_reserve_vcc 1
		.amdhsa_reserve_flat_scratch 0
		.amdhsa_float_round_mode_32 0
		.amdhsa_float_round_mode_16_64 0
		.amdhsa_float_denorm_mode_32 3
		.amdhsa_float_denorm_mode_16_64 3
		.amdhsa_dx10_clamp 1
		.amdhsa_ieee_mode 1
		.amdhsa_fp16_overflow 0
		.amdhsa_exception_fp_ieee_invalid_op 0
		.amdhsa_exception_fp_denorm_src 0
		.amdhsa_exception_fp_ieee_div_zero 0
		.amdhsa_exception_fp_ieee_overflow 0
		.amdhsa_exception_fp_ieee_underflow 0
		.amdhsa_exception_fp_ieee_inexact 0
		.amdhsa_exception_int_div_zero 0
	.end_amdhsa_kernel
	.section	.text._ZN2at6native12_GLOBAL__N_128upsample_nearest1d_out_frameIN3c104HalfEXadL_ZNS0_37nearest_neighbor_compute_source_indexEfiiEEEEvPKT_mmmmPS5_f,"axG",@progbits,_ZN2at6native12_GLOBAL__N_128upsample_nearest1d_out_frameIN3c104HalfEXadL_ZNS0_37nearest_neighbor_compute_source_indexEfiiEEEEvPKT_mmmmPS5_f,comdat
.Lfunc_end2:
	.size	_ZN2at6native12_GLOBAL__N_128upsample_nearest1d_out_frameIN3c104HalfEXadL_ZNS0_37nearest_neighbor_compute_source_indexEfiiEEEEvPKT_mmmmPS5_f, .Lfunc_end2-_ZN2at6native12_GLOBAL__N_128upsample_nearest1d_out_frameIN3c104HalfEXadL_ZNS0_37nearest_neighbor_compute_source_indexEfiiEEEEvPKT_mmmmPS5_f
                                        ; -- End function
	.set _ZN2at6native12_GLOBAL__N_128upsample_nearest1d_out_frameIN3c104HalfEXadL_ZNS0_37nearest_neighbor_compute_source_indexEfiiEEEEvPKT_mmmmPS5_f.num_vgpr, 11
	.set _ZN2at6native12_GLOBAL__N_128upsample_nearest1d_out_frameIN3c104HalfEXadL_ZNS0_37nearest_neighbor_compute_source_indexEfiiEEEEvPKT_mmmmPS5_f.num_agpr, 0
	.set _ZN2at6native12_GLOBAL__N_128upsample_nearest1d_out_frameIN3c104HalfEXadL_ZNS0_37nearest_neighbor_compute_source_indexEfiiEEEEvPKT_mmmmPS5_f.numbered_sgpr, 27
	.set _ZN2at6native12_GLOBAL__N_128upsample_nearest1d_out_frameIN3c104HalfEXadL_ZNS0_37nearest_neighbor_compute_source_indexEfiiEEEEvPKT_mmmmPS5_f.num_named_barrier, 0
	.set _ZN2at6native12_GLOBAL__N_128upsample_nearest1d_out_frameIN3c104HalfEXadL_ZNS0_37nearest_neighbor_compute_source_indexEfiiEEEEvPKT_mmmmPS5_f.private_seg_size, 0
	.set _ZN2at6native12_GLOBAL__N_128upsample_nearest1d_out_frameIN3c104HalfEXadL_ZNS0_37nearest_neighbor_compute_source_indexEfiiEEEEvPKT_mmmmPS5_f.uses_vcc, 1
	.set _ZN2at6native12_GLOBAL__N_128upsample_nearest1d_out_frameIN3c104HalfEXadL_ZNS0_37nearest_neighbor_compute_source_indexEfiiEEEEvPKT_mmmmPS5_f.uses_flat_scratch, 0
	.set _ZN2at6native12_GLOBAL__N_128upsample_nearest1d_out_frameIN3c104HalfEXadL_ZNS0_37nearest_neighbor_compute_source_indexEfiiEEEEvPKT_mmmmPS5_f.has_dyn_sized_stack, 0
	.set _ZN2at6native12_GLOBAL__N_128upsample_nearest1d_out_frameIN3c104HalfEXadL_ZNS0_37nearest_neighbor_compute_source_indexEfiiEEEEvPKT_mmmmPS5_f.has_recursion, 0
	.set _ZN2at6native12_GLOBAL__N_128upsample_nearest1d_out_frameIN3c104HalfEXadL_ZNS0_37nearest_neighbor_compute_source_indexEfiiEEEEvPKT_mmmmPS5_f.has_indirect_call, 0
	.section	.AMDGPU.csdata,"",@progbits
; Kernel info:
; codeLenInByte = 1608
; TotalNumSgprs: 31
; NumVgprs: 11
; ScratchSize: 0
; MemoryBound: 0
; FloatMode: 240
; IeeeMode: 1
; LDSByteSize: 0 bytes/workgroup (compile time only)
; SGPRBlocks: 3
; VGPRBlocks: 2
; NumSGPRsForWavesPerEU: 31
; NumVGPRsForWavesPerEU: 11
; Occupancy: 10
; WaveLimiterHint : 0
; COMPUTE_PGM_RSRC2:SCRATCH_EN: 0
; COMPUTE_PGM_RSRC2:USER_SGPR: 6
; COMPUTE_PGM_RSRC2:TRAP_HANDLER: 0
; COMPUTE_PGM_RSRC2:TGID_X_EN: 1
; COMPUTE_PGM_RSRC2:TGID_Y_EN: 0
; COMPUTE_PGM_RSRC2:TGID_Z_EN: 0
; COMPUTE_PGM_RSRC2:TIDIG_COMP_CNT: 0
	.section	.text._ZN2at6native12_GLOBAL__N_128upsample_nearest1d_out_frameIN3c108BFloat16EXadL_ZNS0_37nearest_neighbor_compute_source_indexEfiiEEEEvPKT_mmmmPS5_f,"axG",@progbits,_ZN2at6native12_GLOBAL__N_128upsample_nearest1d_out_frameIN3c108BFloat16EXadL_ZNS0_37nearest_neighbor_compute_source_indexEfiiEEEEvPKT_mmmmPS5_f,comdat
	.globl	_ZN2at6native12_GLOBAL__N_128upsample_nearest1d_out_frameIN3c108BFloat16EXadL_ZNS0_37nearest_neighbor_compute_source_indexEfiiEEEEvPKT_mmmmPS5_f ; -- Begin function _ZN2at6native12_GLOBAL__N_128upsample_nearest1d_out_frameIN3c108BFloat16EXadL_ZNS0_37nearest_neighbor_compute_source_indexEfiiEEEEvPKT_mmmmPS5_f
	.p2align	8
	.type	_ZN2at6native12_GLOBAL__N_128upsample_nearest1d_out_frameIN3c108BFloat16EXadL_ZNS0_37nearest_neighbor_compute_source_indexEfiiEEEEvPKT_mmmmPS5_f,@function
_ZN2at6native12_GLOBAL__N_128upsample_nearest1d_out_frameIN3c108BFloat16EXadL_ZNS0_37nearest_neighbor_compute_source_indexEfiiEEEEvPKT_mmmmPS5_f: ; @_ZN2at6native12_GLOBAL__N_128upsample_nearest1d_out_frameIN3c108BFloat16EXadL_ZNS0_37nearest_neighbor_compute_source_indexEfiiEEEEvPKT_mmmmPS5_f
; %bb.0:
	s_load_dword s0, s[4:5], 0x44
	s_load_dwordx4 s[16:19], s[4:5], 0x20
	s_load_dwordx8 s[8:15], s[4:5], 0x0
	s_waitcnt lgkmcnt(0)
	s_and_b32 s0, s0, 0xffff
	s_mul_i32 s6, s6, s0
	s_mul_i32 s0, s16, s13
	s_mul_hi_u32 s1, s16, s12
	v_add_u32_e32 v0, s6, v0
	s_add_i32 s0, s1, s0
	s_mul_i32 s1, s17, s12
	v_ashrrev_i32_e32 v1, 31, v0
	s_add_i32 s3, s0, s1
	s_mul_i32 s2, s16, s12
	v_cmp_gt_u64_e32 vcc, s[2:3], v[0:1]
	s_and_saveexec_b64 s[0:1], vcc
	s_cbranch_execz .LBB3_12
; %bb.1:
	s_cmp_eq_u64 s[10:11], 0
	s_cbranch_scc1 .LBB3_12
; %bb.2:
	v_or_b32_e32 v3, s17, v1
	v_mov_b32_e32 v2, 0
	v_cmp_ne_u64_e32 vcc, 0, v[2:3]
                                        ; implicit-def: $vgpr2_vgpr3
	s_and_saveexec_b64 s[0:1], vcc
	s_xor_b64 s[6:7], exec, s[0:1]
	s_cbranch_execz .LBB3_4
; %bb.3:
	v_cvt_f32_u32_e32 v2, s16
	v_cvt_f32_u32_e32 v3, s17
	s_sub_u32 s15, 0, s16
	s_subb_u32 s20, 0, s17
	v_madmk_f32 v2, v3, 0x4f800000, v2
	v_rcp_f32_e32 v2, v2
	v_mul_f32_e32 v2, 0x5f7ffffc, v2
	v_mul_f32_e32 v3, 0x2f800000, v2
	v_trunc_f32_e32 v3, v3
	v_madmk_f32 v2, v3, 0xcf800000, v2
	v_cvt_u32_f32_e32 v3, v3
	v_cvt_u32_f32_e32 v2, v2
	v_readfirstlane_b32 s21, v3
	v_readfirstlane_b32 s0, v2
	s_mul_i32 s1, s15, s21
	s_mul_hi_u32 s23, s15, s0
	s_mul_i32 s22, s20, s0
	s_add_i32 s1, s23, s1
	s_mul_i32 s24, s15, s0
	s_add_i32 s1, s1, s22
	s_mul_i32 s23, s0, s1
	s_mul_hi_u32 s25, s0, s24
	s_mul_hi_u32 s22, s0, s1
	s_add_u32 s23, s25, s23
	s_addc_u32 s22, 0, s22
	s_mul_hi_u32 s26, s21, s24
	s_mul_i32 s24, s21, s24
	s_add_u32 s23, s23, s24
	s_mul_hi_u32 s25, s21, s1
	s_addc_u32 s22, s22, s26
	s_addc_u32 s23, s25, 0
	s_mul_i32 s1, s21, s1
	s_add_u32 s1, s22, s1
	s_addc_u32 s22, 0, s23
	s_add_u32 s23, s0, s1
	s_cselect_b64 s[0:1], -1, 0
	s_cmp_lg_u64 s[0:1], 0
	s_addc_u32 s21, s21, s22
	s_mul_i32 s0, s15, s21
	s_mul_hi_u32 s1, s15, s23
	s_add_i32 s0, s1, s0
	s_mul_i32 s20, s20, s23
	s_add_i32 s0, s0, s20
	s_mul_i32 s15, s15, s23
	s_mul_hi_u32 s20, s21, s15
	s_mul_i32 s22, s21, s15
	s_mul_i32 s25, s23, s0
	s_mul_hi_u32 s15, s23, s15
	s_mul_hi_u32 s24, s23, s0
	s_add_u32 s15, s15, s25
	s_addc_u32 s24, 0, s24
	s_add_u32 s15, s15, s22
	s_mul_hi_u32 s1, s21, s0
	s_addc_u32 s15, s24, s20
	s_addc_u32 s1, s1, 0
	s_mul_i32 s0, s21, s0
	s_add_u32 s0, s15, s0
	s_addc_u32 s15, 0, s1
	s_add_u32 s20, s23, s0
	s_cselect_b64 s[0:1], -1, 0
	s_cmp_lg_u64 s[0:1], 0
	s_addc_u32 s15, s21, s15
	v_mad_u64_u32 v[2:3], s[0:1], v0, s15, 0
	v_mul_hi_u32 v4, v0, s20
	v_add_co_u32_e32 v6, vcc, v4, v2
	v_addc_co_u32_e32 v7, vcc, 0, v3, vcc
	v_mad_u64_u32 v[2:3], s[0:1], v1, s20, 0
	v_mad_u64_u32 v[4:5], s[0:1], v1, s15, 0
	v_add_co_u32_e32 v2, vcc, v6, v2
	v_addc_co_u32_e32 v2, vcc, v7, v3, vcc
	v_addc_co_u32_e32 v3, vcc, 0, v5, vcc
	v_add_co_u32_e32 v4, vcc, v2, v4
	v_addc_co_u32_e32 v5, vcc, 0, v3, vcc
	v_mul_lo_u32 v6, s17, v4
	v_mul_lo_u32 v7, s16, v5
	v_mad_u64_u32 v[2:3], s[0:1], s16, v4, 0
	v_add3_u32 v3, v3, v7, v6
	v_sub_u32_e32 v6, v1, v3
	v_mov_b32_e32 v7, s17
	v_sub_co_u32_e32 v2, vcc, v0, v2
	v_subb_co_u32_e64 v6, s[0:1], v6, v7, vcc
	v_subrev_co_u32_e64 v7, s[0:1], s16, v2
	v_subbrev_co_u32_e64 v6, s[0:1], 0, v6, s[0:1]
	v_cmp_le_u32_e64 s[0:1], s17, v6
	v_cndmask_b32_e64 v8, 0, -1, s[0:1]
	v_cmp_le_u32_e64 s[0:1], s16, v7
	v_cndmask_b32_e64 v7, 0, -1, s[0:1]
	v_cmp_eq_u32_e64 s[0:1], s17, v6
	v_cndmask_b32_e64 v6, v8, v7, s[0:1]
	v_add_co_u32_e64 v7, s[0:1], 2, v4
	v_addc_co_u32_e64 v8, s[0:1], 0, v5, s[0:1]
	v_add_co_u32_e64 v9, s[0:1], 1, v4
	v_addc_co_u32_e64 v10, s[0:1], 0, v5, s[0:1]
	v_subb_co_u32_e32 v3, vcc, v1, v3, vcc
	v_cmp_ne_u32_e64 s[0:1], 0, v6
	v_cmp_le_u32_e32 vcc, s17, v3
	v_cndmask_b32_e64 v6, v10, v8, s[0:1]
	v_cndmask_b32_e64 v8, 0, -1, vcc
	v_cmp_le_u32_e32 vcc, s16, v2
	v_cndmask_b32_e64 v2, 0, -1, vcc
	v_cmp_eq_u32_e32 vcc, s17, v3
	v_cndmask_b32_e32 v2, v8, v2, vcc
	v_cmp_ne_u32_e32 vcc, 0, v2
	v_cndmask_b32_e64 v2, v9, v7, s[0:1]
	v_cndmask_b32_e32 v3, v5, v6, vcc
	v_cndmask_b32_e32 v2, v4, v2, vcc
.LBB3_4:
	s_andn2_saveexec_b64 s[0:1], s[6:7]
	s_cbranch_execz .LBB3_6
; %bb.5:
	v_cvt_f32_u32_e32 v2, s16
	s_sub_i32 s6, 0, s16
	v_rcp_iflag_f32_e32 v2, v2
	v_mul_f32_e32 v2, 0x4f7ffffe, v2
	v_cvt_u32_f32_e32 v2, v2
	v_mul_lo_u32 v3, s6, v2
	v_mul_hi_u32 v3, v2, v3
	v_add_u32_e32 v2, v2, v3
	v_mul_hi_u32 v2, v0, v2
	v_mul_lo_u32 v3, v2, s16
	v_add_u32_e32 v4, 1, v2
	v_sub_u32_e32 v3, v0, v3
	v_subrev_u32_e32 v5, s16, v3
	v_cmp_le_u32_e32 vcc, s16, v3
	v_cndmask_b32_e32 v3, v3, v5, vcc
	v_cndmask_b32_e32 v2, v2, v4, vcc
	v_add_u32_e32 v4, 1, v2
	v_cmp_le_u32_e32 vcc, s16, v3
	v_cndmask_b32_e32 v2, v2, v4, vcc
	v_mov_b32_e32 v3, 0
.LBB3_6:
	s_or_b64 exec, exec, s[0:1]
	v_or_b32_e32 v5, s13, v3
	v_mov_b32_e32 v4, 0
	v_cmp_ne_u64_e32 vcc, 0, v[4:5]
                                        ; implicit-def: $vgpr4_vgpr5
	s_and_saveexec_b64 s[0:1], vcc
	s_xor_b64 s[6:7], exec, s[0:1]
	s_cbranch_execz .LBB3_8
; %bb.7:
	v_cvt_f32_u32_e32 v4, s12
	v_cvt_f32_u32_e32 v5, s13
	s_sub_u32 s15, 0, s12
	s_subb_u32 s17, 0, s13
	v_madmk_f32 v4, v5, 0x4f800000, v4
	v_rcp_f32_e32 v4, v4
	v_mul_f32_e32 v4, 0x5f7ffffc, v4
	v_mul_f32_e32 v5, 0x2f800000, v4
	v_trunc_f32_e32 v5, v5
	v_madmk_f32 v4, v5, 0xcf800000, v4
	v_cvt_u32_f32_e32 v5, v5
	v_cvt_u32_f32_e32 v4, v4
	v_readfirstlane_b32 s20, v5
	v_readfirstlane_b32 s0, v4
	s_mul_i32 s1, s15, s20
	s_mul_hi_u32 s22, s15, s0
	s_mul_i32 s21, s17, s0
	s_add_i32 s1, s22, s1
	s_mul_i32 s23, s15, s0
	s_add_i32 s1, s1, s21
	s_mul_i32 s22, s0, s1
	s_mul_hi_u32 s24, s0, s23
	s_mul_hi_u32 s21, s0, s1
	s_add_u32 s22, s24, s22
	s_addc_u32 s21, 0, s21
	s_mul_hi_u32 s25, s20, s23
	s_mul_i32 s23, s20, s23
	s_add_u32 s22, s22, s23
	s_mul_hi_u32 s24, s20, s1
	s_addc_u32 s21, s21, s25
	s_addc_u32 s22, s24, 0
	s_mul_i32 s1, s20, s1
	s_add_u32 s1, s21, s1
	s_addc_u32 s21, 0, s22
	s_add_u32 s22, s0, s1
	s_cselect_b64 s[0:1], -1, 0
	s_cmp_lg_u64 s[0:1], 0
	s_addc_u32 s20, s20, s21
	s_mul_i32 s0, s15, s20
	s_mul_hi_u32 s1, s15, s22
	s_add_i32 s0, s1, s0
	s_mul_i32 s17, s17, s22
	s_add_i32 s0, s0, s17
	s_mul_i32 s15, s15, s22
	s_mul_hi_u32 s17, s20, s15
	s_mul_i32 s21, s20, s15
	s_mul_i32 s24, s22, s0
	s_mul_hi_u32 s15, s22, s15
	s_mul_hi_u32 s23, s22, s0
	s_add_u32 s15, s15, s24
	s_addc_u32 s23, 0, s23
	s_add_u32 s15, s15, s21
	s_mul_hi_u32 s1, s20, s0
	s_addc_u32 s15, s23, s17
	s_addc_u32 s1, s1, 0
	s_mul_i32 s0, s20, s0
	s_add_u32 s0, s15, s0
	s_addc_u32 s15, 0, s1
	s_add_u32 s17, s22, s0
	s_cselect_b64 s[0:1], -1, 0
	s_cmp_lg_u64 s[0:1], 0
	s_addc_u32 s15, s20, s15
	v_mad_u64_u32 v[4:5], s[0:1], v2, s15, 0
	v_mul_hi_u32 v6, v2, s17
	v_add_co_u32_e32 v8, vcc, v6, v4
	v_addc_co_u32_e32 v9, vcc, 0, v5, vcc
	v_mad_u64_u32 v[4:5], s[0:1], v3, s17, 0
	v_mad_u64_u32 v[6:7], s[0:1], v3, s15, 0
	v_add_co_u32_e32 v4, vcc, v8, v4
	v_addc_co_u32_e32 v4, vcc, v9, v5, vcc
	v_addc_co_u32_e32 v5, vcc, 0, v7, vcc
	v_add_co_u32_e32 v4, vcc, v4, v6
	v_addc_co_u32_e32 v5, vcc, 0, v5, vcc
	v_mul_lo_u32 v6, s13, v4
	v_mul_lo_u32 v7, s12, v5
	v_mad_u64_u32 v[4:5], s[0:1], s12, v4, 0
	v_add3_u32 v5, v5, v7, v6
	v_sub_u32_e32 v6, v3, v5
	v_mov_b32_e32 v7, s13
	v_sub_co_u32_e32 v4, vcc, v2, v4
	v_subb_co_u32_e64 v6, s[0:1], v6, v7, vcc
	v_subrev_co_u32_e64 v7, s[0:1], s12, v4
	v_subbrev_co_u32_e64 v6, s[0:1], 0, v6, s[0:1]
	v_cmp_le_u32_e64 s[0:1], s13, v6
	v_subb_co_u32_e32 v3, vcc, v3, v5, vcc
	v_cndmask_b32_e64 v8, 0, -1, s[0:1]
	v_cmp_le_u32_e64 s[0:1], s12, v7
	v_cmp_le_u32_e32 vcc, s13, v3
	v_cndmask_b32_e64 v9, 0, -1, s[0:1]
	v_cmp_eq_u32_e64 s[0:1], s13, v6
	v_cndmask_b32_e64 v5, 0, -1, vcc
	v_cmp_le_u32_e32 vcc, s12, v4
	v_cndmask_b32_e64 v6, v8, v9, s[0:1]
	v_cndmask_b32_e64 v9, 0, -1, vcc
	v_cmp_eq_u32_e32 vcc, s13, v3
	v_subrev_co_u32_e64 v8, s[0:1], s12, v7
	v_cndmask_b32_e32 v3, v5, v9, vcc
	v_cmp_ne_u32_e32 vcc, 0, v6
	v_cndmask_b32_e32 v5, v7, v8, vcc
	v_cmp_ne_u32_e32 vcc, 0, v3
	v_cndmask_b32_e32 v4, v4, v5, vcc
.LBB3_8:
	s_andn2_saveexec_b64 s[0:1], s[6:7]
	s_cbranch_execz .LBB3_10
; %bb.9:
	v_cvt_f32_u32_e32 v3, s12
	s_sub_i32 s6, 0, s12
	v_rcp_iflag_f32_e32 v3, v3
	v_mul_f32_e32 v3, 0x4f7ffffe, v3
	v_cvt_u32_f32_e32 v3, v3
	v_mul_lo_u32 v4, s6, v3
	v_mul_hi_u32 v4, v3, v4
	v_add_u32_e32 v3, v3, v4
	v_mul_hi_u32 v3, v2, v3
	v_mul_lo_u32 v3, v3, s12
	v_sub_u32_e32 v3, v2, v3
	v_subrev_u32_e32 v4, s12, v3
	v_cmp_le_u32_e32 vcc, s12, v3
	v_cndmask_b32_e32 v3, v3, v4, vcc
	v_subrev_u32_e32 v4, s12, v3
	v_cmp_le_u32_e32 vcc, s12, v3
	v_cndmask_b32_e32 v4, v3, v4, vcc
.LBB3_10:
	s_or_b64 exec, exec, s[0:1]
	v_mul_lo_u32 v2, v2, s16
	s_load_dword s0, s[4:5], 0x30
	s_add_i32 s1, s14, -1
	v_mov_b32_e32 v6, s19
	v_sub_u32_e32 v2, v0, v2
	v_cvt_f32_i32_e32 v2, v2
	s_mul_i32 s6, s14, s12
	s_mov_b64 s[4:5], 0
	s_waitcnt lgkmcnt(0)
	v_mul_f32_e32 v2, s0, v2
	v_floor_f32_e32 v2, v2
	v_cvt_i32_f32_e32 v5, v2
	v_lshlrev_b64 v[2:3], 1, v[0:1]
	v_add_co_u32_e32 v2, vcc, s18, v2
	v_min_i32_e32 v0, s1, v5
	v_mad_u64_u32 v[0:1], s[0:1], v4, s14, v[0:1]
	s_bfe_i64 s[0:1], s[2:3], 0x200000
	s_lshl_b64 s[2:3], s[0:1], 1
	v_addc_co_u32_e32 v3, vcc, v6, v3, vcc
	v_mov_b32_e32 v4, s9
	v_mov_b32_e32 v5, s3
.LBB3_11:                               ; =>This Inner Loop Header: Depth=1
	v_ashrrev_i32_e32 v1, 31, v0
	v_lshlrev_b64 v[6:7], 1, v[0:1]
	s_add_u32 s4, s4, 1
	v_add_co_u32_e32 v6, vcc, s8, v6
	v_addc_co_u32_e32 v7, vcc, v4, v7, vcc
	global_load_ushort v1, v[6:7], off
	s_addc_u32 s5, s5, 0
	v_mov_b32_e32 v7, s5
	v_mov_b32_e32 v6, s4
	v_cmp_gt_u64_e32 vcc, s[10:11], v[6:7]
	v_add_u32_e32 v0, s6, v0
	s_and_b64 vcc, exec, vcc
	s_waitcnt vmcnt(0)
	global_store_short v[2:3], v1, off
	v_add_co_u32_e64 v2, s[0:1], s2, v2
	v_addc_co_u32_e64 v3, s[0:1], v3, v5, s[0:1]
	s_cbranch_vccnz .LBB3_11
.LBB3_12:
	s_endpgm
	.section	.rodata,"a",@progbits
	.p2align	6, 0x0
	.amdhsa_kernel _ZN2at6native12_GLOBAL__N_128upsample_nearest1d_out_frameIN3c108BFloat16EXadL_ZNS0_37nearest_neighbor_compute_source_indexEfiiEEEEvPKT_mmmmPS5_f
		.amdhsa_group_segment_fixed_size 0
		.amdhsa_private_segment_fixed_size 0
		.amdhsa_kernarg_size 312
		.amdhsa_user_sgpr_count 6
		.amdhsa_user_sgpr_private_segment_buffer 1
		.amdhsa_user_sgpr_dispatch_ptr 0
		.amdhsa_user_sgpr_queue_ptr 0
		.amdhsa_user_sgpr_kernarg_segment_ptr 1
		.amdhsa_user_sgpr_dispatch_id 0
		.amdhsa_user_sgpr_flat_scratch_init 0
		.amdhsa_user_sgpr_private_segment_size 0
		.amdhsa_uses_dynamic_stack 0
		.amdhsa_system_sgpr_private_segment_wavefront_offset 0
		.amdhsa_system_sgpr_workgroup_id_x 1
		.amdhsa_system_sgpr_workgroup_id_y 0
		.amdhsa_system_sgpr_workgroup_id_z 0
		.amdhsa_system_sgpr_workgroup_info 0
		.amdhsa_system_vgpr_workitem_id 0
		.amdhsa_next_free_vgpr 11
		.amdhsa_next_free_sgpr 27
		.amdhsa_reserve_vcc 1
		.amdhsa_reserve_flat_scratch 0
		.amdhsa_float_round_mode_32 0
		.amdhsa_float_round_mode_16_64 0
		.amdhsa_float_denorm_mode_32 3
		.amdhsa_float_denorm_mode_16_64 3
		.amdhsa_dx10_clamp 1
		.amdhsa_ieee_mode 1
		.amdhsa_fp16_overflow 0
		.amdhsa_exception_fp_ieee_invalid_op 0
		.amdhsa_exception_fp_denorm_src 0
		.amdhsa_exception_fp_ieee_div_zero 0
		.amdhsa_exception_fp_ieee_overflow 0
		.amdhsa_exception_fp_ieee_underflow 0
		.amdhsa_exception_fp_ieee_inexact 0
		.amdhsa_exception_int_div_zero 0
	.end_amdhsa_kernel
	.section	.text._ZN2at6native12_GLOBAL__N_128upsample_nearest1d_out_frameIN3c108BFloat16EXadL_ZNS0_37nearest_neighbor_compute_source_indexEfiiEEEEvPKT_mmmmPS5_f,"axG",@progbits,_ZN2at6native12_GLOBAL__N_128upsample_nearest1d_out_frameIN3c108BFloat16EXadL_ZNS0_37nearest_neighbor_compute_source_indexEfiiEEEEvPKT_mmmmPS5_f,comdat
.Lfunc_end3:
	.size	_ZN2at6native12_GLOBAL__N_128upsample_nearest1d_out_frameIN3c108BFloat16EXadL_ZNS0_37nearest_neighbor_compute_source_indexEfiiEEEEvPKT_mmmmPS5_f, .Lfunc_end3-_ZN2at6native12_GLOBAL__N_128upsample_nearest1d_out_frameIN3c108BFloat16EXadL_ZNS0_37nearest_neighbor_compute_source_indexEfiiEEEEvPKT_mmmmPS5_f
                                        ; -- End function
	.set _ZN2at6native12_GLOBAL__N_128upsample_nearest1d_out_frameIN3c108BFloat16EXadL_ZNS0_37nearest_neighbor_compute_source_indexEfiiEEEEvPKT_mmmmPS5_f.num_vgpr, 11
	.set _ZN2at6native12_GLOBAL__N_128upsample_nearest1d_out_frameIN3c108BFloat16EXadL_ZNS0_37nearest_neighbor_compute_source_indexEfiiEEEEvPKT_mmmmPS5_f.num_agpr, 0
	.set _ZN2at6native12_GLOBAL__N_128upsample_nearest1d_out_frameIN3c108BFloat16EXadL_ZNS0_37nearest_neighbor_compute_source_indexEfiiEEEEvPKT_mmmmPS5_f.numbered_sgpr, 27
	.set _ZN2at6native12_GLOBAL__N_128upsample_nearest1d_out_frameIN3c108BFloat16EXadL_ZNS0_37nearest_neighbor_compute_source_indexEfiiEEEEvPKT_mmmmPS5_f.num_named_barrier, 0
	.set _ZN2at6native12_GLOBAL__N_128upsample_nearest1d_out_frameIN3c108BFloat16EXadL_ZNS0_37nearest_neighbor_compute_source_indexEfiiEEEEvPKT_mmmmPS5_f.private_seg_size, 0
	.set _ZN2at6native12_GLOBAL__N_128upsample_nearest1d_out_frameIN3c108BFloat16EXadL_ZNS0_37nearest_neighbor_compute_source_indexEfiiEEEEvPKT_mmmmPS5_f.uses_vcc, 1
	.set _ZN2at6native12_GLOBAL__N_128upsample_nearest1d_out_frameIN3c108BFloat16EXadL_ZNS0_37nearest_neighbor_compute_source_indexEfiiEEEEvPKT_mmmmPS5_f.uses_flat_scratch, 0
	.set _ZN2at6native12_GLOBAL__N_128upsample_nearest1d_out_frameIN3c108BFloat16EXadL_ZNS0_37nearest_neighbor_compute_source_indexEfiiEEEEvPKT_mmmmPS5_f.has_dyn_sized_stack, 0
	.set _ZN2at6native12_GLOBAL__N_128upsample_nearest1d_out_frameIN3c108BFloat16EXadL_ZNS0_37nearest_neighbor_compute_source_indexEfiiEEEEvPKT_mmmmPS5_f.has_recursion, 0
	.set _ZN2at6native12_GLOBAL__N_128upsample_nearest1d_out_frameIN3c108BFloat16EXadL_ZNS0_37nearest_neighbor_compute_source_indexEfiiEEEEvPKT_mmmmPS5_f.has_indirect_call, 0
	.section	.AMDGPU.csdata,"",@progbits
; Kernel info:
; codeLenInByte = 1608
; TotalNumSgprs: 31
; NumVgprs: 11
; ScratchSize: 0
; MemoryBound: 0
; FloatMode: 240
; IeeeMode: 1
; LDSByteSize: 0 bytes/workgroup (compile time only)
; SGPRBlocks: 3
; VGPRBlocks: 2
; NumSGPRsForWavesPerEU: 31
; NumVGPRsForWavesPerEU: 11
; Occupancy: 10
; WaveLimiterHint : 0
; COMPUTE_PGM_RSRC2:SCRATCH_EN: 0
; COMPUTE_PGM_RSRC2:USER_SGPR: 6
; COMPUTE_PGM_RSRC2:TRAP_HANDLER: 0
; COMPUTE_PGM_RSRC2:TGID_X_EN: 1
; COMPUTE_PGM_RSRC2:TGID_Y_EN: 0
; COMPUTE_PGM_RSRC2:TGID_Z_EN: 0
; COMPUTE_PGM_RSRC2:TIDIG_COMP_CNT: 0
	.section	.text._ZN2at6native12_GLOBAL__N_128upsample_nearest1d_out_frameIhXadL_ZNS0_37nearest_neighbor_compute_source_indexEfiiEEEEvPKT_mmmmPS3_f,"axG",@progbits,_ZN2at6native12_GLOBAL__N_128upsample_nearest1d_out_frameIhXadL_ZNS0_37nearest_neighbor_compute_source_indexEfiiEEEEvPKT_mmmmPS3_f,comdat
	.globl	_ZN2at6native12_GLOBAL__N_128upsample_nearest1d_out_frameIhXadL_ZNS0_37nearest_neighbor_compute_source_indexEfiiEEEEvPKT_mmmmPS3_f ; -- Begin function _ZN2at6native12_GLOBAL__N_128upsample_nearest1d_out_frameIhXadL_ZNS0_37nearest_neighbor_compute_source_indexEfiiEEEEvPKT_mmmmPS3_f
	.p2align	8
	.type	_ZN2at6native12_GLOBAL__N_128upsample_nearest1d_out_frameIhXadL_ZNS0_37nearest_neighbor_compute_source_indexEfiiEEEEvPKT_mmmmPS3_f,@function
_ZN2at6native12_GLOBAL__N_128upsample_nearest1d_out_frameIhXadL_ZNS0_37nearest_neighbor_compute_source_indexEfiiEEEEvPKT_mmmmPS3_f: ; @_ZN2at6native12_GLOBAL__N_128upsample_nearest1d_out_frameIhXadL_ZNS0_37nearest_neighbor_compute_source_indexEfiiEEEEvPKT_mmmmPS3_f
; %bb.0:
	s_load_dword s0, s[4:5], 0x44
	s_load_dwordx4 s[16:19], s[4:5], 0x20
	s_load_dwordx8 s[8:15], s[4:5], 0x0
	s_waitcnt lgkmcnt(0)
	s_and_b32 s0, s0, 0xffff
	s_mul_i32 s6, s6, s0
	s_mul_i32 s0, s16, s13
	s_mul_hi_u32 s1, s16, s12
	v_add_u32_e32 v0, s6, v0
	s_add_i32 s0, s1, s0
	s_mul_i32 s1, s17, s12
	v_ashrrev_i32_e32 v1, 31, v0
	s_add_i32 s3, s0, s1
	s_mul_i32 s2, s16, s12
	v_cmp_gt_u64_e32 vcc, s[2:3], v[0:1]
	s_and_saveexec_b64 s[0:1], vcc
	s_cbranch_execz .LBB4_12
; %bb.1:
	s_cmp_eq_u64 s[10:11], 0
	s_cbranch_scc1 .LBB4_12
; %bb.2:
	v_or_b32_e32 v3, s17, v1
	v_mov_b32_e32 v2, 0
	v_cmp_ne_u64_e32 vcc, 0, v[2:3]
                                        ; implicit-def: $vgpr2_vgpr3
	s_and_saveexec_b64 s[0:1], vcc
	s_xor_b64 s[6:7], exec, s[0:1]
	s_cbranch_execz .LBB4_4
; %bb.3:
	v_cvt_f32_u32_e32 v2, s16
	v_cvt_f32_u32_e32 v3, s17
	s_sub_u32 s15, 0, s16
	s_subb_u32 s20, 0, s17
	v_madmk_f32 v2, v3, 0x4f800000, v2
	v_rcp_f32_e32 v2, v2
	v_mul_f32_e32 v2, 0x5f7ffffc, v2
	v_mul_f32_e32 v3, 0x2f800000, v2
	v_trunc_f32_e32 v3, v3
	v_madmk_f32 v2, v3, 0xcf800000, v2
	v_cvt_u32_f32_e32 v3, v3
	v_cvt_u32_f32_e32 v2, v2
	v_readfirstlane_b32 s21, v3
	v_readfirstlane_b32 s0, v2
	s_mul_i32 s1, s15, s21
	s_mul_hi_u32 s23, s15, s0
	s_mul_i32 s22, s20, s0
	s_add_i32 s1, s23, s1
	s_mul_i32 s24, s15, s0
	s_add_i32 s1, s1, s22
	s_mul_i32 s23, s0, s1
	s_mul_hi_u32 s25, s0, s24
	s_mul_hi_u32 s22, s0, s1
	s_add_u32 s23, s25, s23
	s_addc_u32 s22, 0, s22
	s_mul_hi_u32 s26, s21, s24
	s_mul_i32 s24, s21, s24
	s_add_u32 s23, s23, s24
	s_mul_hi_u32 s25, s21, s1
	s_addc_u32 s22, s22, s26
	s_addc_u32 s23, s25, 0
	s_mul_i32 s1, s21, s1
	s_add_u32 s1, s22, s1
	s_addc_u32 s22, 0, s23
	s_add_u32 s23, s0, s1
	s_cselect_b64 s[0:1], -1, 0
	s_cmp_lg_u64 s[0:1], 0
	s_addc_u32 s21, s21, s22
	s_mul_i32 s0, s15, s21
	s_mul_hi_u32 s1, s15, s23
	s_add_i32 s0, s1, s0
	s_mul_i32 s20, s20, s23
	s_add_i32 s0, s0, s20
	s_mul_i32 s15, s15, s23
	s_mul_hi_u32 s20, s21, s15
	s_mul_i32 s22, s21, s15
	s_mul_i32 s25, s23, s0
	s_mul_hi_u32 s15, s23, s15
	s_mul_hi_u32 s24, s23, s0
	s_add_u32 s15, s15, s25
	s_addc_u32 s24, 0, s24
	s_add_u32 s15, s15, s22
	s_mul_hi_u32 s1, s21, s0
	s_addc_u32 s15, s24, s20
	s_addc_u32 s1, s1, 0
	s_mul_i32 s0, s21, s0
	s_add_u32 s0, s15, s0
	s_addc_u32 s15, 0, s1
	s_add_u32 s20, s23, s0
	s_cselect_b64 s[0:1], -1, 0
	s_cmp_lg_u64 s[0:1], 0
	s_addc_u32 s15, s21, s15
	v_mad_u64_u32 v[2:3], s[0:1], v0, s15, 0
	v_mul_hi_u32 v4, v0, s20
	v_add_co_u32_e32 v6, vcc, v4, v2
	v_addc_co_u32_e32 v7, vcc, 0, v3, vcc
	v_mad_u64_u32 v[2:3], s[0:1], v1, s20, 0
	v_mad_u64_u32 v[4:5], s[0:1], v1, s15, 0
	v_add_co_u32_e32 v2, vcc, v6, v2
	v_addc_co_u32_e32 v2, vcc, v7, v3, vcc
	v_addc_co_u32_e32 v3, vcc, 0, v5, vcc
	v_add_co_u32_e32 v4, vcc, v2, v4
	v_addc_co_u32_e32 v5, vcc, 0, v3, vcc
	v_mul_lo_u32 v6, s17, v4
	v_mul_lo_u32 v7, s16, v5
	v_mad_u64_u32 v[2:3], s[0:1], s16, v4, 0
	v_add3_u32 v3, v3, v7, v6
	v_sub_u32_e32 v6, v1, v3
	v_mov_b32_e32 v7, s17
	v_sub_co_u32_e32 v2, vcc, v0, v2
	v_subb_co_u32_e64 v6, s[0:1], v6, v7, vcc
	v_subrev_co_u32_e64 v7, s[0:1], s16, v2
	v_subbrev_co_u32_e64 v6, s[0:1], 0, v6, s[0:1]
	v_cmp_le_u32_e64 s[0:1], s17, v6
	v_cndmask_b32_e64 v8, 0, -1, s[0:1]
	v_cmp_le_u32_e64 s[0:1], s16, v7
	v_cndmask_b32_e64 v7, 0, -1, s[0:1]
	v_cmp_eq_u32_e64 s[0:1], s17, v6
	v_cndmask_b32_e64 v6, v8, v7, s[0:1]
	v_add_co_u32_e64 v7, s[0:1], 2, v4
	v_addc_co_u32_e64 v8, s[0:1], 0, v5, s[0:1]
	v_add_co_u32_e64 v9, s[0:1], 1, v4
	v_addc_co_u32_e64 v10, s[0:1], 0, v5, s[0:1]
	v_subb_co_u32_e32 v3, vcc, v1, v3, vcc
	v_cmp_ne_u32_e64 s[0:1], 0, v6
	v_cmp_le_u32_e32 vcc, s17, v3
	v_cndmask_b32_e64 v6, v10, v8, s[0:1]
	v_cndmask_b32_e64 v8, 0, -1, vcc
	v_cmp_le_u32_e32 vcc, s16, v2
	v_cndmask_b32_e64 v2, 0, -1, vcc
	v_cmp_eq_u32_e32 vcc, s17, v3
	v_cndmask_b32_e32 v2, v8, v2, vcc
	v_cmp_ne_u32_e32 vcc, 0, v2
	v_cndmask_b32_e64 v2, v9, v7, s[0:1]
	v_cndmask_b32_e32 v3, v5, v6, vcc
	v_cndmask_b32_e32 v2, v4, v2, vcc
.LBB4_4:
	s_andn2_saveexec_b64 s[0:1], s[6:7]
	s_cbranch_execz .LBB4_6
; %bb.5:
	v_cvt_f32_u32_e32 v2, s16
	s_sub_i32 s6, 0, s16
	v_rcp_iflag_f32_e32 v2, v2
	v_mul_f32_e32 v2, 0x4f7ffffe, v2
	v_cvt_u32_f32_e32 v2, v2
	v_mul_lo_u32 v3, s6, v2
	v_mul_hi_u32 v3, v2, v3
	v_add_u32_e32 v2, v2, v3
	v_mul_hi_u32 v2, v0, v2
	v_mul_lo_u32 v3, v2, s16
	v_add_u32_e32 v4, 1, v2
	v_sub_u32_e32 v3, v0, v3
	v_subrev_u32_e32 v5, s16, v3
	v_cmp_le_u32_e32 vcc, s16, v3
	v_cndmask_b32_e32 v3, v3, v5, vcc
	v_cndmask_b32_e32 v2, v2, v4, vcc
	v_add_u32_e32 v4, 1, v2
	v_cmp_le_u32_e32 vcc, s16, v3
	v_cndmask_b32_e32 v2, v2, v4, vcc
	v_mov_b32_e32 v3, 0
.LBB4_6:
	s_or_b64 exec, exec, s[0:1]
	v_or_b32_e32 v5, s13, v3
	v_mov_b32_e32 v4, 0
	v_cmp_ne_u64_e32 vcc, 0, v[4:5]
                                        ; implicit-def: $vgpr4_vgpr5
	s_and_saveexec_b64 s[0:1], vcc
	s_xor_b64 s[6:7], exec, s[0:1]
	s_cbranch_execz .LBB4_8
; %bb.7:
	v_cvt_f32_u32_e32 v4, s12
	v_cvt_f32_u32_e32 v5, s13
	s_sub_u32 s15, 0, s12
	s_subb_u32 s17, 0, s13
	v_madmk_f32 v4, v5, 0x4f800000, v4
	v_rcp_f32_e32 v4, v4
	v_mul_f32_e32 v4, 0x5f7ffffc, v4
	v_mul_f32_e32 v5, 0x2f800000, v4
	v_trunc_f32_e32 v5, v5
	v_madmk_f32 v4, v5, 0xcf800000, v4
	v_cvt_u32_f32_e32 v5, v5
	v_cvt_u32_f32_e32 v4, v4
	v_readfirstlane_b32 s20, v5
	v_readfirstlane_b32 s0, v4
	s_mul_i32 s1, s15, s20
	s_mul_hi_u32 s22, s15, s0
	s_mul_i32 s21, s17, s0
	s_add_i32 s1, s22, s1
	s_mul_i32 s23, s15, s0
	s_add_i32 s1, s1, s21
	s_mul_i32 s22, s0, s1
	s_mul_hi_u32 s24, s0, s23
	s_mul_hi_u32 s21, s0, s1
	s_add_u32 s22, s24, s22
	s_addc_u32 s21, 0, s21
	s_mul_hi_u32 s25, s20, s23
	s_mul_i32 s23, s20, s23
	s_add_u32 s22, s22, s23
	s_mul_hi_u32 s24, s20, s1
	s_addc_u32 s21, s21, s25
	s_addc_u32 s22, s24, 0
	s_mul_i32 s1, s20, s1
	s_add_u32 s1, s21, s1
	s_addc_u32 s21, 0, s22
	s_add_u32 s22, s0, s1
	s_cselect_b64 s[0:1], -1, 0
	s_cmp_lg_u64 s[0:1], 0
	s_addc_u32 s20, s20, s21
	s_mul_i32 s0, s15, s20
	s_mul_hi_u32 s1, s15, s22
	s_add_i32 s0, s1, s0
	s_mul_i32 s17, s17, s22
	s_add_i32 s0, s0, s17
	s_mul_i32 s15, s15, s22
	s_mul_hi_u32 s17, s20, s15
	s_mul_i32 s21, s20, s15
	s_mul_i32 s24, s22, s0
	s_mul_hi_u32 s15, s22, s15
	s_mul_hi_u32 s23, s22, s0
	s_add_u32 s15, s15, s24
	s_addc_u32 s23, 0, s23
	s_add_u32 s15, s15, s21
	s_mul_hi_u32 s1, s20, s0
	s_addc_u32 s15, s23, s17
	s_addc_u32 s1, s1, 0
	s_mul_i32 s0, s20, s0
	s_add_u32 s0, s15, s0
	s_addc_u32 s15, 0, s1
	s_add_u32 s17, s22, s0
	s_cselect_b64 s[0:1], -1, 0
	s_cmp_lg_u64 s[0:1], 0
	s_addc_u32 s15, s20, s15
	v_mad_u64_u32 v[4:5], s[0:1], v2, s15, 0
	v_mul_hi_u32 v6, v2, s17
	v_add_co_u32_e32 v8, vcc, v6, v4
	v_addc_co_u32_e32 v9, vcc, 0, v5, vcc
	v_mad_u64_u32 v[4:5], s[0:1], v3, s17, 0
	v_mad_u64_u32 v[6:7], s[0:1], v3, s15, 0
	v_add_co_u32_e32 v4, vcc, v8, v4
	v_addc_co_u32_e32 v4, vcc, v9, v5, vcc
	v_addc_co_u32_e32 v5, vcc, 0, v7, vcc
	v_add_co_u32_e32 v4, vcc, v4, v6
	v_addc_co_u32_e32 v5, vcc, 0, v5, vcc
	v_mul_lo_u32 v6, s13, v4
	v_mul_lo_u32 v7, s12, v5
	v_mad_u64_u32 v[4:5], s[0:1], s12, v4, 0
	v_add3_u32 v5, v5, v7, v6
	v_sub_u32_e32 v6, v3, v5
	v_mov_b32_e32 v7, s13
	v_sub_co_u32_e32 v4, vcc, v2, v4
	v_subb_co_u32_e64 v6, s[0:1], v6, v7, vcc
	v_subrev_co_u32_e64 v7, s[0:1], s12, v4
	v_subbrev_co_u32_e64 v6, s[0:1], 0, v6, s[0:1]
	v_cmp_le_u32_e64 s[0:1], s13, v6
	v_subb_co_u32_e32 v3, vcc, v3, v5, vcc
	v_cndmask_b32_e64 v8, 0, -1, s[0:1]
	v_cmp_le_u32_e64 s[0:1], s12, v7
	v_cmp_le_u32_e32 vcc, s13, v3
	v_cndmask_b32_e64 v9, 0, -1, s[0:1]
	v_cmp_eq_u32_e64 s[0:1], s13, v6
	v_cndmask_b32_e64 v5, 0, -1, vcc
	v_cmp_le_u32_e32 vcc, s12, v4
	v_cndmask_b32_e64 v6, v8, v9, s[0:1]
	v_cndmask_b32_e64 v9, 0, -1, vcc
	v_cmp_eq_u32_e32 vcc, s13, v3
	v_subrev_co_u32_e64 v8, s[0:1], s12, v7
	v_cndmask_b32_e32 v3, v5, v9, vcc
	v_cmp_ne_u32_e32 vcc, 0, v6
	v_cndmask_b32_e32 v5, v7, v8, vcc
	v_cmp_ne_u32_e32 vcc, 0, v3
	v_cndmask_b32_e32 v4, v4, v5, vcc
.LBB4_8:
	s_andn2_saveexec_b64 s[0:1], s[6:7]
	s_cbranch_execz .LBB4_10
; %bb.9:
	v_cvt_f32_u32_e32 v3, s12
	s_sub_i32 s6, 0, s12
	v_rcp_iflag_f32_e32 v3, v3
	v_mul_f32_e32 v3, 0x4f7ffffe, v3
	v_cvt_u32_f32_e32 v3, v3
	v_mul_lo_u32 v4, s6, v3
	v_mul_hi_u32 v4, v3, v4
	v_add_u32_e32 v3, v3, v4
	v_mul_hi_u32 v3, v2, v3
	v_mul_lo_u32 v3, v3, s12
	v_sub_u32_e32 v3, v2, v3
	v_subrev_u32_e32 v4, s12, v3
	v_cmp_le_u32_e32 vcc, s12, v3
	v_cndmask_b32_e32 v3, v3, v4, vcc
	v_subrev_u32_e32 v4, s12, v3
	v_cmp_le_u32_e32 vcc, s12, v3
	v_cndmask_b32_e32 v4, v3, v4, vcc
.LBB4_10:
	s_or_b64 exec, exec, s[0:1]
	v_mul_lo_u32 v2, v2, s16
	s_load_dword s0, s[4:5], 0x30
	s_add_i32 s1, s14, -1
	v_mov_b32_e32 v3, s19
	v_sub_u32_e32 v2, v0, v2
	v_cvt_f32_i32_e32 v2, v2
	v_add_co_u32_e32 v0, vcc, s18, v0
	v_addc_co_u32_e32 v1, vcc, v3, v1, vcc
	s_waitcnt lgkmcnt(0)
	v_mul_f32_e32 v2, s0, v2
	v_floor_f32_e32 v2, v2
	v_cvt_i32_f32_e32 v2, v2
	s_bfe_i64 s[2:3], s[2:3], 0x200000
	s_mul_i32 s6, s14, s12
	s_mov_b64 s[4:5], 0
	v_min_i32_e32 v2, s1, v2
	v_mad_u64_u32 v[2:3], s[0:1], v4, s14, v[2:3]
	v_mov_b32_e32 v3, s9
	v_mov_b32_e32 v4, s3
.LBB4_11:                               ; =>This Inner Loop Header: Depth=1
	v_ashrrev_i32_e32 v6, 31, v2
	v_add_co_u32_e32 v5, vcc, s8, v2
	v_addc_co_u32_e32 v6, vcc, v3, v6, vcc
	global_load_ubyte v7, v[5:6], off
	s_add_u32 s4, s4, 1
	s_addc_u32 s5, s5, 0
	v_mov_b32_e32 v6, s5
	v_mov_b32_e32 v5, s4
	v_cmp_gt_u64_e32 vcc, s[10:11], v[5:6]
	v_add_u32_e32 v2, s6, v2
	s_and_b64 vcc, exec, vcc
	s_waitcnt vmcnt(0)
	global_store_byte v[0:1], v7, off
	v_add_co_u32_e64 v0, s[0:1], s2, v0
	v_addc_co_u32_e64 v1, s[0:1], v1, v4, s[0:1]
	s_cbranch_vccnz .LBB4_11
.LBB4_12:
	s_endpgm
	.section	.rodata,"a",@progbits
	.p2align	6, 0x0
	.amdhsa_kernel _ZN2at6native12_GLOBAL__N_128upsample_nearest1d_out_frameIhXadL_ZNS0_37nearest_neighbor_compute_source_indexEfiiEEEEvPKT_mmmmPS3_f
		.amdhsa_group_segment_fixed_size 0
		.amdhsa_private_segment_fixed_size 0
		.amdhsa_kernarg_size 312
		.amdhsa_user_sgpr_count 6
		.amdhsa_user_sgpr_private_segment_buffer 1
		.amdhsa_user_sgpr_dispatch_ptr 0
		.amdhsa_user_sgpr_queue_ptr 0
		.amdhsa_user_sgpr_kernarg_segment_ptr 1
		.amdhsa_user_sgpr_dispatch_id 0
		.amdhsa_user_sgpr_flat_scratch_init 0
		.amdhsa_user_sgpr_private_segment_size 0
		.amdhsa_uses_dynamic_stack 0
		.amdhsa_system_sgpr_private_segment_wavefront_offset 0
		.amdhsa_system_sgpr_workgroup_id_x 1
		.amdhsa_system_sgpr_workgroup_id_y 0
		.amdhsa_system_sgpr_workgroup_id_z 0
		.amdhsa_system_sgpr_workgroup_info 0
		.amdhsa_system_vgpr_workitem_id 0
		.amdhsa_next_free_vgpr 11
		.amdhsa_next_free_sgpr 27
		.amdhsa_reserve_vcc 1
		.amdhsa_reserve_flat_scratch 0
		.amdhsa_float_round_mode_32 0
		.amdhsa_float_round_mode_16_64 0
		.amdhsa_float_denorm_mode_32 3
		.amdhsa_float_denorm_mode_16_64 3
		.amdhsa_dx10_clamp 1
		.amdhsa_ieee_mode 1
		.amdhsa_fp16_overflow 0
		.amdhsa_exception_fp_ieee_invalid_op 0
		.amdhsa_exception_fp_denorm_src 0
		.amdhsa_exception_fp_ieee_div_zero 0
		.amdhsa_exception_fp_ieee_overflow 0
		.amdhsa_exception_fp_ieee_underflow 0
		.amdhsa_exception_fp_ieee_inexact 0
		.amdhsa_exception_int_div_zero 0
	.end_amdhsa_kernel
	.section	.text._ZN2at6native12_GLOBAL__N_128upsample_nearest1d_out_frameIhXadL_ZNS0_37nearest_neighbor_compute_source_indexEfiiEEEEvPKT_mmmmPS3_f,"axG",@progbits,_ZN2at6native12_GLOBAL__N_128upsample_nearest1d_out_frameIhXadL_ZNS0_37nearest_neighbor_compute_source_indexEfiiEEEEvPKT_mmmmPS3_f,comdat
.Lfunc_end4:
	.size	_ZN2at6native12_GLOBAL__N_128upsample_nearest1d_out_frameIhXadL_ZNS0_37nearest_neighbor_compute_source_indexEfiiEEEEvPKT_mmmmPS3_f, .Lfunc_end4-_ZN2at6native12_GLOBAL__N_128upsample_nearest1d_out_frameIhXadL_ZNS0_37nearest_neighbor_compute_source_indexEfiiEEEEvPKT_mmmmPS3_f
                                        ; -- End function
	.set _ZN2at6native12_GLOBAL__N_128upsample_nearest1d_out_frameIhXadL_ZNS0_37nearest_neighbor_compute_source_indexEfiiEEEEvPKT_mmmmPS3_f.num_vgpr, 11
	.set _ZN2at6native12_GLOBAL__N_128upsample_nearest1d_out_frameIhXadL_ZNS0_37nearest_neighbor_compute_source_indexEfiiEEEEvPKT_mmmmPS3_f.num_agpr, 0
	.set _ZN2at6native12_GLOBAL__N_128upsample_nearest1d_out_frameIhXadL_ZNS0_37nearest_neighbor_compute_source_indexEfiiEEEEvPKT_mmmmPS3_f.numbered_sgpr, 27
	.set _ZN2at6native12_GLOBAL__N_128upsample_nearest1d_out_frameIhXadL_ZNS0_37nearest_neighbor_compute_source_indexEfiiEEEEvPKT_mmmmPS3_f.num_named_barrier, 0
	.set _ZN2at6native12_GLOBAL__N_128upsample_nearest1d_out_frameIhXadL_ZNS0_37nearest_neighbor_compute_source_indexEfiiEEEEvPKT_mmmmPS3_f.private_seg_size, 0
	.set _ZN2at6native12_GLOBAL__N_128upsample_nearest1d_out_frameIhXadL_ZNS0_37nearest_neighbor_compute_source_indexEfiiEEEEvPKT_mmmmPS3_f.uses_vcc, 1
	.set _ZN2at6native12_GLOBAL__N_128upsample_nearest1d_out_frameIhXadL_ZNS0_37nearest_neighbor_compute_source_indexEfiiEEEEvPKT_mmmmPS3_f.uses_flat_scratch, 0
	.set _ZN2at6native12_GLOBAL__N_128upsample_nearest1d_out_frameIhXadL_ZNS0_37nearest_neighbor_compute_source_indexEfiiEEEEvPKT_mmmmPS3_f.has_dyn_sized_stack, 0
	.set _ZN2at6native12_GLOBAL__N_128upsample_nearest1d_out_frameIhXadL_ZNS0_37nearest_neighbor_compute_source_indexEfiiEEEEvPKT_mmmmPS3_f.has_recursion, 0
	.set _ZN2at6native12_GLOBAL__N_128upsample_nearest1d_out_frameIhXadL_ZNS0_37nearest_neighbor_compute_source_indexEfiiEEEEvPKT_mmmmPS3_f.has_indirect_call, 0
	.section	.AMDGPU.csdata,"",@progbits
; Kernel info:
; codeLenInByte = 1588
; TotalNumSgprs: 31
; NumVgprs: 11
; ScratchSize: 0
; MemoryBound: 0
; FloatMode: 240
; IeeeMode: 1
; LDSByteSize: 0 bytes/workgroup (compile time only)
; SGPRBlocks: 3
; VGPRBlocks: 2
; NumSGPRsForWavesPerEU: 31
; NumVGPRsForWavesPerEU: 11
; Occupancy: 10
; WaveLimiterHint : 0
; COMPUTE_PGM_RSRC2:SCRATCH_EN: 0
; COMPUTE_PGM_RSRC2:USER_SGPR: 6
; COMPUTE_PGM_RSRC2:TRAP_HANDLER: 0
; COMPUTE_PGM_RSRC2:TGID_X_EN: 1
; COMPUTE_PGM_RSRC2:TGID_Y_EN: 0
; COMPUTE_PGM_RSRC2:TGID_Z_EN: 0
; COMPUTE_PGM_RSRC2:TIDIG_COMP_CNT: 0
	.section	.text._ZN2at6native12_GLOBAL__N_128upsample_nearest1d_out_frameIdXadL_ZNS0_43nearest_neighbor_exact_compute_source_indexEfiiEEEEvPKT_mmmmPS3_f,"axG",@progbits,_ZN2at6native12_GLOBAL__N_128upsample_nearest1d_out_frameIdXadL_ZNS0_43nearest_neighbor_exact_compute_source_indexEfiiEEEEvPKT_mmmmPS3_f,comdat
	.globl	_ZN2at6native12_GLOBAL__N_128upsample_nearest1d_out_frameIdXadL_ZNS0_43nearest_neighbor_exact_compute_source_indexEfiiEEEEvPKT_mmmmPS3_f ; -- Begin function _ZN2at6native12_GLOBAL__N_128upsample_nearest1d_out_frameIdXadL_ZNS0_43nearest_neighbor_exact_compute_source_indexEfiiEEEEvPKT_mmmmPS3_f
	.p2align	8
	.type	_ZN2at6native12_GLOBAL__N_128upsample_nearest1d_out_frameIdXadL_ZNS0_43nearest_neighbor_exact_compute_source_indexEfiiEEEEvPKT_mmmmPS3_f,@function
_ZN2at6native12_GLOBAL__N_128upsample_nearest1d_out_frameIdXadL_ZNS0_43nearest_neighbor_exact_compute_source_indexEfiiEEEEvPKT_mmmmPS3_f: ; @_ZN2at6native12_GLOBAL__N_128upsample_nearest1d_out_frameIdXadL_ZNS0_43nearest_neighbor_exact_compute_source_indexEfiiEEEEvPKT_mmmmPS3_f
; %bb.0:
	s_load_dword s0, s[4:5], 0x44
	s_load_dwordx4 s[16:19], s[4:5], 0x20
	s_load_dwordx8 s[8:15], s[4:5], 0x0
	s_waitcnt lgkmcnt(0)
	s_and_b32 s0, s0, 0xffff
	s_mul_i32 s6, s6, s0
	s_mul_i32 s0, s16, s13
	s_mul_hi_u32 s1, s16, s12
	v_add_u32_e32 v0, s6, v0
	s_add_i32 s0, s1, s0
	s_mul_i32 s1, s17, s12
	v_ashrrev_i32_e32 v1, 31, v0
	s_add_i32 s3, s0, s1
	s_mul_i32 s2, s16, s12
	v_cmp_gt_u64_e32 vcc, s[2:3], v[0:1]
	s_and_saveexec_b64 s[0:1], vcc
	s_cbranch_execz .LBB5_12
; %bb.1:
	s_cmp_eq_u64 s[10:11], 0
	s_cbranch_scc1 .LBB5_12
; %bb.2:
	v_or_b32_e32 v3, s17, v1
	v_mov_b32_e32 v2, 0
	v_cmp_ne_u64_e32 vcc, 0, v[2:3]
                                        ; implicit-def: $vgpr2_vgpr3
	s_and_saveexec_b64 s[0:1], vcc
	s_xor_b64 s[6:7], exec, s[0:1]
	s_cbranch_execz .LBB5_4
; %bb.3:
	v_cvt_f32_u32_e32 v2, s16
	v_cvt_f32_u32_e32 v3, s17
	s_sub_u32 s15, 0, s16
	s_subb_u32 s20, 0, s17
	v_madmk_f32 v2, v3, 0x4f800000, v2
	v_rcp_f32_e32 v2, v2
	v_mul_f32_e32 v2, 0x5f7ffffc, v2
	v_mul_f32_e32 v3, 0x2f800000, v2
	v_trunc_f32_e32 v3, v3
	v_madmk_f32 v2, v3, 0xcf800000, v2
	v_cvt_u32_f32_e32 v3, v3
	v_cvt_u32_f32_e32 v2, v2
	v_readfirstlane_b32 s21, v3
	v_readfirstlane_b32 s0, v2
	s_mul_i32 s1, s15, s21
	s_mul_hi_u32 s23, s15, s0
	s_mul_i32 s22, s20, s0
	s_add_i32 s1, s23, s1
	s_mul_i32 s24, s15, s0
	s_add_i32 s1, s1, s22
	s_mul_i32 s23, s0, s1
	s_mul_hi_u32 s25, s0, s24
	s_mul_hi_u32 s22, s0, s1
	s_add_u32 s23, s25, s23
	s_addc_u32 s22, 0, s22
	s_mul_hi_u32 s26, s21, s24
	s_mul_i32 s24, s21, s24
	s_add_u32 s23, s23, s24
	s_mul_hi_u32 s25, s21, s1
	s_addc_u32 s22, s22, s26
	s_addc_u32 s23, s25, 0
	s_mul_i32 s1, s21, s1
	s_add_u32 s1, s22, s1
	s_addc_u32 s22, 0, s23
	s_add_u32 s23, s0, s1
	s_cselect_b64 s[0:1], -1, 0
	s_cmp_lg_u64 s[0:1], 0
	s_addc_u32 s21, s21, s22
	s_mul_i32 s0, s15, s21
	s_mul_hi_u32 s1, s15, s23
	s_add_i32 s0, s1, s0
	s_mul_i32 s20, s20, s23
	s_add_i32 s0, s0, s20
	s_mul_i32 s15, s15, s23
	s_mul_hi_u32 s20, s21, s15
	s_mul_i32 s22, s21, s15
	s_mul_i32 s25, s23, s0
	s_mul_hi_u32 s15, s23, s15
	s_mul_hi_u32 s24, s23, s0
	s_add_u32 s15, s15, s25
	s_addc_u32 s24, 0, s24
	s_add_u32 s15, s15, s22
	s_mul_hi_u32 s1, s21, s0
	s_addc_u32 s15, s24, s20
	s_addc_u32 s1, s1, 0
	s_mul_i32 s0, s21, s0
	s_add_u32 s0, s15, s0
	s_addc_u32 s15, 0, s1
	s_add_u32 s20, s23, s0
	s_cselect_b64 s[0:1], -1, 0
	s_cmp_lg_u64 s[0:1], 0
	s_addc_u32 s15, s21, s15
	v_mad_u64_u32 v[2:3], s[0:1], v0, s15, 0
	v_mul_hi_u32 v4, v0, s20
	v_add_co_u32_e32 v6, vcc, v4, v2
	v_addc_co_u32_e32 v7, vcc, 0, v3, vcc
	v_mad_u64_u32 v[2:3], s[0:1], v1, s20, 0
	v_mad_u64_u32 v[4:5], s[0:1], v1, s15, 0
	v_add_co_u32_e32 v2, vcc, v6, v2
	v_addc_co_u32_e32 v2, vcc, v7, v3, vcc
	v_addc_co_u32_e32 v3, vcc, 0, v5, vcc
	v_add_co_u32_e32 v4, vcc, v2, v4
	v_addc_co_u32_e32 v5, vcc, 0, v3, vcc
	v_mul_lo_u32 v6, s17, v4
	v_mul_lo_u32 v7, s16, v5
	v_mad_u64_u32 v[2:3], s[0:1], s16, v4, 0
	v_add3_u32 v3, v3, v7, v6
	v_sub_u32_e32 v6, v1, v3
	v_mov_b32_e32 v7, s17
	v_sub_co_u32_e32 v2, vcc, v0, v2
	v_subb_co_u32_e64 v6, s[0:1], v6, v7, vcc
	v_subrev_co_u32_e64 v7, s[0:1], s16, v2
	v_subbrev_co_u32_e64 v6, s[0:1], 0, v6, s[0:1]
	v_cmp_le_u32_e64 s[0:1], s17, v6
	v_cndmask_b32_e64 v8, 0, -1, s[0:1]
	v_cmp_le_u32_e64 s[0:1], s16, v7
	v_cndmask_b32_e64 v7, 0, -1, s[0:1]
	v_cmp_eq_u32_e64 s[0:1], s17, v6
	v_cndmask_b32_e64 v6, v8, v7, s[0:1]
	v_add_co_u32_e64 v7, s[0:1], 2, v4
	v_addc_co_u32_e64 v8, s[0:1], 0, v5, s[0:1]
	v_add_co_u32_e64 v9, s[0:1], 1, v4
	v_addc_co_u32_e64 v10, s[0:1], 0, v5, s[0:1]
	v_subb_co_u32_e32 v3, vcc, v1, v3, vcc
	v_cmp_ne_u32_e64 s[0:1], 0, v6
	v_cmp_le_u32_e32 vcc, s17, v3
	v_cndmask_b32_e64 v6, v10, v8, s[0:1]
	v_cndmask_b32_e64 v8, 0, -1, vcc
	v_cmp_le_u32_e32 vcc, s16, v2
	v_cndmask_b32_e64 v2, 0, -1, vcc
	v_cmp_eq_u32_e32 vcc, s17, v3
	v_cndmask_b32_e32 v2, v8, v2, vcc
	v_cmp_ne_u32_e32 vcc, 0, v2
	v_cndmask_b32_e64 v2, v9, v7, s[0:1]
	v_cndmask_b32_e32 v3, v5, v6, vcc
	v_cndmask_b32_e32 v2, v4, v2, vcc
.LBB5_4:
	s_andn2_saveexec_b64 s[0:1], s[6:7]
	s_cbranch_execz .LBB5_6
; %bb.5:
	v_cvt_f32_u32_e32 v2, s16
	s_sub_i32 s6, 0, s16
	v_rcp_iflag_f32_e32 v2, v2
	v_mul_f32_e32 v2, 0x4f7ffffe, v2
	v_cvt_u32_f32_e32 v2, v2
	v_mul_lo_u32 v3, s6, v2
	v_mul_hi_u32 v3, v2, v3
	v_add_u32_e32 v2, v2, v3
	v_mul_hi_u32 v2, v0, v2
	v_mul_lo_u32 v3, v2, s16
	v_add_u32_e32 v4, 1, v2
	v_sub_u32_e32 v3, v0, v3
	v_subrev_u32_e32 v5, s16, v3
	v_cmp_le_u32_e32 vcc, s16, v3
	v_cndmask_b32_e32 v3, v3, v5, vcc
	v_cndmask_b32_e32 v2, v2, v4, vcc
	v_add_u32_e32 v4, 1, v2
	v_cmp_le_u32_e32 vcc, s16, v3
	v_cndmask_b32_e32 v2, v2, v4, vcc
	v_mov_b32_e32 v3, 0
.LBB5_6:
	s_or_b64 exec, exec, s[0:1]
	v_or_b32_e32 v5, s13, v3
	v_mov_b32_e32 v4, 0
	v_cmp_ne_u64_e32 vcc, 0, v[4:5]
                                        ; implicit-def: $vgpr4_vgpr5
	s_and_saveexec_b64 s[0:1], vcc
	s_xor_b64 s[6:7], exec, s[0:1]
	s_cbranch_execz .LBB5_8
; %bb.7:
	v_cvt_f32_u32_e32 v4, s12
	v_cvt_f32_u32_e32 v5, s13
	s_sub_u32 s15, 0, s12
	s_subb_u32 s17, 0, s13
	v_madmk_f32 v4, v5, 0x4f800000, v4
	v_rcp_f32_e32 v4, v4
	v_mul_f32_e32 v4, 0x5f7ffffc, v4
	v_mul_f32_e32 v5, 0x2f800000, v4
	v_trunc_f32_e32 v5, v5
	v_madmk_f32 v4, v5, 0xcf800000, v4
	v_cvt_u32_f32_e32 v5, v5
	v_cvt_u32_f32_e32 v4, v4
	v_readfirstlane_b32 s20, v5
	v_readfirstlane_b32 s0, v4
	s_mul_i32 s1, s15, s20
	s_mul_hi_u32 s22, s15, s0
	s_mul_i32 s21, s17, s0
	s_add_i32 s1, s22, s1
	s_mul_i32 s23, s15, s0
	s_add_i32 s1, s1, s21
	s_mul_i32 s22, s0, s1
	s_mul_hi_u32 s24, s0, s23
	s_mul_hi_u32 s21, s0, s1
	s_add_u32 s22, s24, s22
	s_addc_u32 s21, 0, s21
	s_mul_hi_u32 s25, s20, s23
	s_mul_i32 s23, s20, s23
	s_add_u32 s22, s22, s23
	s_mul_hi_u32 s24, s20, s1
	s_addc_u32 s21, s21, s25
	s_addc_u32 s22, s24, 0
	s_mul_i32 s1, s20, s1
	s_add_u32 s1, s21, s1
	s_addc_u32 s21, 0, s22
	s_add_u32 s22, s0, s1
	s_cselect_b64 s[0:1], -1, 0
	s_cmp_lg_u64 s[0:1], 0
	s_addc_u32 s20, s20, s21
	s_mul_i32 s0, s15, s20
	s_mul_hi_u32 s1, s15, s22
	s_add_i32 s0, s1, s0
	s_mul_i32 s17, s17, s22
	s_add_i32 s0, s0, s17
	s_mul_i32 s15, s15, s22
	s_mul_hi_u32 s17, s20, s15
	s_mul_i32 s21, s20, s15
	s_mul_i32 s24, s22, s0
	s_mul_hi_u32 s15, s22, s15
	s_mul_hi_u32 s23, s22, s0
	s_add_u32 s15, s15, s24
	s_addc_u32 s23, 0, s23
	s_add_u32 s15, s15, s21
	s_mul_hi_u32 s1, s20, s0
	s_addc_u32 s15, s23, s17
	s_addc_u32 s1, s1, 0
	s_mul_i32 s0, s20, s0
	s_add_u32 s0, s15, s0
	s_addc_u32 s15, 0, s1
	s_add_u32 s17, s22, s0
	s_cselect_b64 s[0:1], -1, 0
	s_cmp_lg_u64 s[0:1], 0
	s_addc_u32 s15, s20, s15
	v_mad_u64_u32 v[4:5], s[0:1], v2, s15, 0
	v_mul_hi_u32 v6, v2, s17
	v_add_co_u32_e32 v8, vcc, v6, v4
	v_addc_co_u32_e32 v9, vcc, 0, v5, vcc
	v_mad_u64_u32 v[4:5], s[0:1], v3, s17, 0
	v_mad_u64_u32 v[6:7], s[0:1], v3, s15, 0
	v_add_co_u32_e32 v4, vcc, v8, v4
	v_addc_co_u32_e32 v4, vcc, v9, v5, vcc
	v_addc_co_u32_e32 v5, vcc, 0, v7, vcc
	v_add_co_u32_e32 v4, vcc, v4, v6
	v_addc_co_u32_e32 v5, vcc, 0, v5, vcc
	v_mul_lo_u32 v6, s13, v4
	v_mul_lo_u32 v7, s12, v5
	v_mad_u64_u32 v[4:5], s[0:1], s12, v4, 0
	v_add3_u32 v5, v5, v7, v6
	v_sub_u32_e32 v6, v3, v5
	v_mov_b32_e32 v7, s13
	v_sub_co_u32_e32 v4, vcc, v2, v4
	v_subb_co_u32_e64 v6, s[0:1], v6, v7, vcc
	v_subrev_co_u32_e64 v7, s[0:1], s12, v4
	v_subbrev_co_u32_e64 v6, s[0:1], 0, v6, s[0:1]
	v_cmp_le_u32_e64 s[0:1], s13, v6
	v_subb_co_u32_e32 v3, vcc, v3, v5, vcc
	v_cndmask_b32_e64 v8, 0, -1, s[0:1]
	v_cmp_le_u32_e64 s[0:1], s12, v7
	v_cmp_le_u32_e32 vcc, s13, v3
	v_cndmask_b32_e64 v9, 0, -1, s[0:1]
	v_cmp_eq_u32_e64 s[0:1], s13, v6
	v_cndmask_b32_e64 v5, 0, -1, vcc
	v_cmp_le_u32_e32 vcc, s12, v4
	v_cndmask_b32_e64 v6, v8, v9, s[0:1]
	v_cndmask_b32_e64 v9, 0, -1, vcc
	v_cmp_eq_u32_e32 vcc, s13, v3
	v_subrev_co_u32_e64 v8, s[0:1], s12, v7
	v_cndmask_b32_e32 v3, v5, v9, vcc
	v_cmp_ne_u32_e32 vcc, 0, v6
	v_cndmask_b32_e32 v5, v7, v8, vcc
	v_cmp_ne_u32_e32 vcc, 0, v3
	v_cndmask_b32_e32 v4, v4, v5, vcc
.LBB5_8:
	s_andn2_saveexec_b64 s[0:1], s[6:7]
	s_cbranch_execz .LBB5_10
; %bb.9:
	v_cvt_f32_u32_e32 v3, s12
	s_sub_i32 s6, 0, s12
	v_rcp_iflag_f32_e32 v3, v3
	v_mul_f32_e32 v3, 0x4f7ffffe, v3
	v_cvt_u32_f32_e32 v3, v3
	v_mul_lo_u32 v4, s6, v3
	v_mul_hi_u32 v4, v3, v4
	v_add_u32_e32 v3, v3, v4
	v_mul_hi_u32 v3, v2, v3
	v_mul_lo_u32 v3, v3, s12
	v_sub_u32_e32 v3, v2, v3
	v_subrev_u32_e32 v4, s12, v3
	v_cmp_le_u32_e32 vcc, s12, v3
	v_cndmask_b32_e32 v3, v3, v4, vcc
	v_subrev_u32_e32 v4, s12, v3
	v_cmp_le_u32_e32 vcc, s12, v3
	v_cndmask_b32_e32 v4, v3, v4, vcc
.LBB5_10:
	s_or_b64 exec, exec, s[0:1]
	v_mul_lo_u32 v2, v2, s16
	s_load_dword s0, s[4:5], 0x30
	s_add_i32 s1, s14, -1
	v_mov_b32_e32 v6, s19
	v_sub_u32_e32 v2, v0, v2
	v_cvt_f32_i32_e32 v2, v2
	s_mul_i32 s6, s14, s12
	s_mov_b64 s[4:5], 0
	v_add_f32_e32 v2, 0.5, v2
	s_waitcnt lgkmcnt(0)
	v_mul_f32_e32 v2, s0, v2
	v_floor_f32_e32 v2, v2
	v_cvt_i32_f32_e32 v5, v2
	v_lshlrev_b64 v[2:3], 3, v[0:1]
	v_add_co_u32_e32 v2, vcc, s18, v2
	v_min_i32_e32 v0, s1, v5
	v_mad_u64_u32 v[0:1], s[0:1], v4, s14, v[0:1]
	s_bfe_i64 s[0:1], s[2:3], 0x200000
	s_lshl_b64 s[2:3], s[0:1], 3
	v_addc_co_u32_e32 v3, vcc, v6, v3, vcc
	v_mov_b32_e32 v4, s9
	v_mov_b32_e32 v5, s3
.LBB5_11:                               ; =>This Inner Loop Header: Depth=1
	v_ashrrev_i32_e32 v1, 31, v0
	v_lshlrev_b64 v[6:7], 3, v[0:1]
	s_add_u32 s4, s4, 1
	v_add_co_u32_e32 v6, vcc, s8, v6
	v_addc_co_u32_e32 v7, vcc, v4, v7, vcc
	global_load_dwordx2 v[6:7], v[6:7], off
	s_addc_u32 s5, s5, 0
	v_mov_b32_e32 v9, s5
	v_mov_b32_e32 v8, s4
	v_cmp_gt_u64_e32 vcc, s[10:11], v[8:9]
	v_add_u32_e32 v0, s6, v0
	s_and_b64 vcc, exec, vcc
	s_waitcnt vmcnt(0)
	global_store_dwordx2 v[2:3], v[6:7], off
	v_add_co_u32_e64 v2, s[0:1], s2, v2
	v_addc_co_u32_e64 v3, s[0:1], v3, v5, s[0:1]
	s_cbranch_vccnz .LBB5_11
.LBB5_12:
	s_endpgm
	.section	.rodata,"a",@progbits
	.p2align	6, 0x0
	.amdhsa_kernel _ZN2at6native12_GLOBAL__N_128upsample_nearest1d_out_frameIdXadL_ZNS0_43nearest_neighbor_exact_compute_source_indexEfiiEEEEvPKT_mmmmPS3_f
		.amdhsa_group_segment_fixed_size 0
		.amdhsa_private_segment_fixed_size 0
		.amdhsa_kernarg_size 312
		.amdhsa_user_sgpr_count 6
		.amdhsa_user_sgpr_private_segment_buffer 1
		.amdhsa_user_sgpr_dispatch_ptr 0
		.amdhsa_user_sgpr_queue_ptr 0
		.amdhsa_user_sgpr_kernarg_segment_ptr 1
		.amdhsa_user_sgpr_dispatch_id 0
		.amdhsa_user_sgpr_flat_scratch_init 0
		.amdhsa_user_sgpr_private_segment_size 0
		.amdhsa_uses_dynamic_stack 0
		.amdhsa_system_sgpr_private_segment_wavefront_offset 0
		.amdhsa_system_sgpr_workgroup_id_x 1
		.amdhsa_system_sgpr_workgroup_id_y 0
		.amdhsa_system_sgpr_workgroup_id_z 0
		.amdhsa_system_sgpr_workgroup_info 0
		.amdhsa_system_vgpr_workitem_id 0
		.amdhsa_next_free_vgpr 11
		.amdhsa_next_free_sgpr 27
		.amdhsa_reserve_vcc 1
		.amdhsa_reserve_flat_scratch 0
		.amdhsa_float_round_mode_32 0
		.amdhsa_float_round_mode_16_64 0
		.amdhsa_float_denorm_mode_32 3
		.amdhsa_float_denorm_mode_16_64 3
		.amdhsa_dx10_clamp 1
		.amdhsa_ieee_mode 1
		.amdhsa_fp16_overflow 0
		.amdhsa_exception_fp_ieee_invalid_op 0
		.amdhsa_exception_fp_denorm_src 0
		.amdhsa_exception_fp_ieee_div_zero 0
		.amdhsa_exception_fp_ieee_overflow 0
		.amdhsa_exception_fp_ieee_underflow 0
		.amdhsa_exception_fp_ieee_inexact 0
		.amdhsa_exception_int_div_zero 0
	.end_amdhsa_kernel
	.section	.text._ZN2at6native12_GLOBAL__N_128upsample_nearest1d_out_frameIdXadL_ZNS0_43nearest_neighbor_exact_compute_source_indexEfiiEEEEvPKT_mmmmPS3_f,"axG",@progbits,_ZN2at6native12_GLOBAL__N_128upsample_nearest1d_out_frameIdXadL_ZNS0_43nearest_neighbor_exact_compute_source_indexEfiiEEEEvPKT_mmmmPS3_f,comdat
.Lfunc_end5:
	.size	_ZN2at6native12_GLOBAL__N_128upsample_nearest1d_out_frameIdXadL_ZNS0_43nearest_neighbor_exact_compute_source_indexEfiiEEEEvPKT_mmmmPS3_f, .Lfunc_end5-_ZN2at6native12_GLOBAL__N_128upsample_nearest1d_out_frameIdXadL_ZNS0_43nearest_neighbor_exact_compute_source_indexEfiiEEEEvPKT_mmmmPS3_f
                                        ; -- End function
	.set _ZN2at6native12_GLOBAL__N_128upsample_nearest1d_out_frameIdXadL_ZNS0_43nearest_neighbor_exact_compute_source_indexEfiiEEEEvPKT_mmmmPS3_f.num_vgpr, 11
	.set _ZN2at6native12_GLOBAL__N_128upsample_nearest1d_out_frameIdXadL_ZNS0_43nearest_neighbor_exact_compute_source_indexEfiiEEEEvPKT_mmmmPS3_f.num_agpr, 0
	.set _ZN2at6native12_GLOBAL__N_128upsample_nearest1d_out_frameIdXadL_ZNS0_43nearest_neighbor_exact_compute_source_indexEfiiEEEEvPKT_mmmmPS3_f.numbered_sgpr, 27
	.set _ZN2at6native12_GLOBAL__N_128upsample_nearest1d_out_frameIdXadL_ZNS0_43nearest_neighbor_exact_compute_source_indexEfiiEEEEvPKT_mmmmPS3_f.num_named_barrier, 0
	.set _ZN2at6native12_GLOBAL__N_128upsample_nearest1d_out_frameIdXadL_ZNS0_43nearest_neighbor_exact_compute_source_indexEfiiEEEEvPKT_mmmmPS3_f.private_seg_size, 0
	.set _ZN2at6native12_GLOBAL__N_128upsample_nearest1d_out_frameIdXadL_ZNS0_43nearest_neighbor_exact_compute_source_indexEfiiEEEEvPKT_mmmmPS3_f.uses_vcc, 1
	.set _ZN2at6native12_GLOBAL__N_128upsample_nearest1d_out_frameIdXadL_ZNS0_43nearest_neighbor_exact_compute_source_indexEfiiEEEEvPKT_mmmmPS3_f.uses_flat_scratch, 0
	.set _ZN2at6native12_GLOBAL__N_128upsample_nearest1d_out_frameIdXadL_ZNS0_43nearest_neighbor_exact_compute_source_indexEfiiEEEEvPKT_mmmmPS3_f.has_dyn_sized_stack, 0
	.set _ZN2at6native12_GLOBAL__N_128upsample_nearest1d_out_frameIdXadL_ZNS0_43nearest_neighbor_exact_compute_source_indexEfiiEEEEvPKT_mmmmPS3_f.has_recursion, 0
	.set _ZN2at6native12_GLOBAL__N_128upsample_nearest1d_out_frameIdXadL_ZNS0_43nearest_neighbor_exact_compute_source_indexEfiiEEEEvPKT_mmmmPS3_f.has_indirect_call, 0
	.section	.AMDGPU.csdata,"",@progbits
; Kernel info:
; codeLenInByte = 1612
; TotalNumSgprs: 31
; NumVgprs: 11
; ScratchSize: 0
; MemoryBound: 0
; FloatMode: 240
; IeeeMode: 1
; LDSByteSize: 0 bytes/workgroup (compile time only)
; SGPRBlocks: 3
; VGPRBlocks: 2
; NumSGPRsForWavesPerEU: 31
; NumVGPRsForWavesPerEU: 11
; Occupancy: 10
; WaveLimiterHint : 0
; COMPUTE_PGM_RSRC2:SCRATCH_EN: 0
; COMPUTE_PGM_RSRC2:USER_SGPR: 6
; COMPUTE_PGM_RSRC2:TRAP_HANDLER: 0
; COMPUTE_PGM_RSRC2:TGID_X_EN: 1
; COMPUTE_PGM_RSRC2:TGID_Y_EN: 0
; COMPUTE_PGM_RSRC2:TGID_Z_EN: 0
; COMPUTE_PGM_RSRC2:TIDIG_COMP_CNT: 0
	.section	.text._ZN2at6native12_GLOBAL__N_128upsample_nearest1d_out_frameIfXadL_ZNS0_43nearest_neighbor_exact_compute_source_indexEfiiEEEEvPKT_mmmmPS3_f,"axG",@progbits,_ZN2at6native12_GLOBAL__N_128upsample_nearest1d_out_frameIfXadL_ZNS0_43nearest_neighbor_exact_compute_source_indexEfiiEEEEvPKT_mmmmPS3_f,comdat
	.globl	_ZN2at6native12_GLOBAL__N_128upsample_nearest1d_out_frameIfXadL_ZNS0_43nearest_neighbor_exact_compute_source_indexEfiiEEEEvPKT_mmmmPS3_f ; -- Begin function _ZN2at6native12_GLOBAL__N_128upsample_nearest1d_out_frameIfXadL_ZNS0_43nearest_neighbor_exact_compute_source_indexEfiiEEEEvPKT_mmmmPS3_f
	.p2align	8
	.type	_ZN2at6native12_GLOBAL__N_128upsample_nearest1d_out_frameIfXadL_ZNS0_43nearest_neighbor_exact_compute_source_indexEfiiEEEEvPKT_mmmmPS3_f,@function
_ZN2at6native12_GLOBAL__N_128upsample_nearest1d_out_frameIfXadL_ZNS0_43nearest_neighbor_exact_compute_source_indexEfiiEEEEvPKT_mmmmPS3_f: ; @_ZN2at6native12_GLOBAL__N_128upsample_nearest1d_out_frameIfXadL_ZNS0_43nearest_neighbor_exact_compute_source_indexEfiiEEEEvPKT_mmmmPS3_f
; %bb.0:
	s_load_dword s0, s[4:5], 0x44
	s_load_dwordx4 s[16:19], s[4:5], 0x20
	s_load_dwordx8 s[8:15], s[4:5], 0x0
	s_waitcnt lgkmcnt(0)
	s_and_b32 s0, s0, 0xffff
	s_mul_i32 s6, s6, s0
	s_mul_i32 s0, s16, s13
	s_mul_hi_u32 s1, s16, s12
	v_add_u32_e32 v0, s6, v0
	s_add_i32 s0, s1, s0
	s_mul_i32 s1, s17, s12
	v_ashrrev_i32_e32 v1, 31, v0
	s_add_i32 s3, s0, s1
	s_mul_i32 s2, s16, s12
	v_cmp_gt_u64_e32 vcc, s[2:3], v[0:1]
	s_and_saveexec_b64 s[0:1], vcc
	s_cbranch_execz .LBB6_12
; %bb.1:
	s_cmp_eq_u64 s[10:11], 0
	s_cbranch_scc1 .LBB6_12
; %bb.2:
	v_or_b32_e32 v3, s17, v1
	v_mov_b32_e32 v2, 0
	v_cmp_ne_u64_e32 vcc, 0, v[2:3]
                                        ; implicit-def: $vgpr2_vgpr3
	s_and_saveexec_b64 s[0:1], vcc
	s_xor_b64 s[6:7], exec, s[0:1]
	s_cbranch_execz .LBB6_4
; %bb.3:
	v_cvt_f32_u32_e32 v2, s16
	v_cvt_f32_u32_e32 v3, s17
	s_sub_u32 s15, 0, s16
	s_subb_u32 s20, 0, s17
	v_madmk_f32 v2, v3, 0x4f800000, v2
	v_rcp_f32_e32 v2, v2
	v_mul_f32_e32 v2, 0x5f7ffffc, v2
	v_mul_f32_e32 v3, 0x2f800000, v2
	v_trunc_f32_e32 v3, v3
	v_madmk_f32 v2, v3, 0xcf800000, v2
	v_cvt_u32_f32_e32 v3, v3
	v_cvt_u32_f32_e32 v2, v2
	v_readfirstlane_b32 s21, v3
	v_readfirstlane_b32 s0, v2
	s_mul_i32 s1, s15, s21
	s_mul_hi_u32 s23, s15, s0
	s_mul_i32 s22, s20, s0
	s_add_i32 s1, s23, s1
	s_mul_i32 s24, s15, s0
	s_add_i32 s1, s1, s22
	s_mul_i32 s23, s0, s1
	s_mul_hi_u32 s25, s0, s24
	s_mul_hi_u32 s22, s0, s1
	s_add_u32 s23, s25, s23
	s_addc_u32 s22, 0, s22
	s_mul_hi_u32 s26, s21, s24
	s_mul_i32 s24, s21, s24
	s_add_u32 s23, s23, s24
	s_mul_hi_u32 s25, s21, s1
	s_addc_u32 s22, s22, s26
	s_addc_u32 s23, s25, 0
	s_mul_i32 s1, s21, s1
	s_add_u32 s1, s22, s1
	s_addc_u32 s22, 0, s23
	s_add_u32 s23, s0, s1
	s_cselect_b64 s[0:1], -1, 0
	s_cmp_lg_u64 s[0:1], 0
	s_addc_u32 s21, s21, s22
	s_mul_i32 s0, s15, s21
	s_mul_hi_u32 s1, s15, s23
	s_add_i32 s0, s1, s0
	s_mul_i32 s20, s20, s23
	s_add_i32 s0, s0, s20
	s_mul_i32 s15, s15, s23
	s_mul_hi_u32 s20, s21, s15
	s_mul_i32 s22, s21, s15
	s_mul_i32 s25, s23, s0
	s_mul_hi_u32 s15, s23, s15
	s_mul_hi_u32 s24, s23, s0
	s_add_u32 s15, s15, s25
	s_addc_u32 s24, 0, s24
	s_add_u32 s15, s15, s22
	s_mul_hi_u32 s1, s21, s0
	s_addc_u32 s15, s24, s20
	s_addc_u32 s1, s1, 0
	s_mul_i32 s0, s21, s0
	s_add_u32 s0, s15, s0
	s_addc_u32 s15, 0, s1
	s_add_u32 s20, s23, s0
	s_cselect_b64 s[0:1], -1, 0
	s_cmp_lg_u64 s[0:1], 0
	s_addc_u32 s15, s21, s15
	v_mad_u64_u32 v[2:3], s[0:1], v0, s15, 0
	v_mul_hi_u32 v4, v0, s20
	v_add_co_u32_e32 v6, vcc, v4, v2
	v_addc_co_u32_e32 v7, vcc, 0, v3, vcc
	v_mad_u64_u32 v[2:3], s[0:1], v1, s20, 0
	v_mad_u64_u32 v[4:5], s[0:1], v1, s15, 0
	v_add_co_u32_e32 v2, vcc, v6, v2
	v_addc_co_u32_e32 v2, vcc, v7, v3, vcc
	v_addc_co_u32_e32 v3, vcc, 0, v5, vcc
	v_add_co_u32_e32 v4, vcc, v2, v4
	v_addc_co_u32_e32 v5, vcc, 0, v3, vcc
	v_mul_lo_u32 v6, s17, v4
	v_mul_lo_u32 v7, s16, v5
	v_mad_u64_u32 v[2:3], s[0:1], s16, v4, 0
	v_add3_u32 v3, v3, v7, v6
	v_sub_u32_e32 v6, v1, v3
	v_mov_b32_e32 v7, s17
	v_sub_co_u32_e32 v2, vcc, v0, v2
	v_subb_co_u32_e64 v6, s[0:1], v6, v7, vcc
	v_subrev_co_u32_e64 v7, s[0:1], s16, v2
	v_subbrev_co_u32_e64 v6, s[0:1], 0, v6, s[0:1]
	v_cmp_le_u32_e64 s[0:1], s17, v6
	v_cndmask_b32_e64 v8, 0, -1, s[0:1]
	v_cmp_le_u32_e64 s[0:1], s16, v7
	v_cndmask_b32_e64 v7, 0, -1, s[0:1]
	v_cmp_eq_u32_e64 s[0:1], s17, v6
	v_cndmask_b32_e64 v6, v8, v7, s[0:1]
	v_add_co_u32_e64 v7, s[0:1], 2, v4
	v_addc_co_u32_e64 v8, s[0:1], 0, v5, s[0:1]
	v_add_co_u32_e64 v9, s[0:1], 1, v4
	v_addc_co_u32_e64 v10, s[0:1], 0, v5, s[0:1]
	v_subb_co_u32_e32 v3, vcc, v1, v3, vcc
	v_cmp_ne_u32_e64 s[0:1], 0, v6
	v_cmp_le_u32_e32 vcc, s17, v3
	v_cndmask_b32_e64 v6, v10, v8, s[0:1]
	v_cndmask_b32_e64 v8, 0, -1, vcc
	v_cmp_le_u32_e32 vcc, s16, v2
	v_cndmask_b32_e64 v2, 0, -1, vcc
	v_cmp_eq_u32_e32 vcc, s17, v3
	v_cndmask_b32_e32 v2, v8, v2, vcc
	v_cmp_ne_u32_e32 vcc, 0, v2
	v_cndmask_b32_e64 v2, v9, v7, s[0:1]
	v_cndmask_b32_e32 v3, v5, v6, vcc
	v_cndmask_b32_e32 v2, v4, v2, vcc
.LBB6_4:
	s_andn2_saveexec_b64 s[0:1], s[6:7]
	s_cbranch_execz .LBB6_6
; %bb.5:
	v_cvt_f32_u32_e32 v2, s16
	s_sub_i32 s6, 0, s16
	v_rcp_iflag_f32_e32 v2, v2
	v_mul_f32_e32 v2, 0x4f7ffffe, v2
	v_cvt_u32_f32_e32 v2, v2
	v_mul_lo_u32 v3, s6, v2
	v_mul_hi_u32 v3, v2, v3
	v_add_u32_e32 v2, v2, v3
	v_mul_hi_u32 v2, v0, v2
	v_mul_lo_u32 v3, v2, s16
	v_add_u32_e32 v4, 1, v2
	v_sub_u32_e32 v3, v0, v3
	v_subrev_u32_e32 v5, s16, v3
	v_cmp_le_u32_e32 vcc, s16, v3
	v_cndmask_b32_e32 v3, v3, v5, vcc
	v_cndmask_b32_e32 v2, v2, v4, vcc
	v_add_u32_e32 v4, 1, v2
	v_cmp_le_u32_e32 vcc, s16, v3
	v_cndmask_b32_e32 v2, v2, v4, vcc
	v_mov_b32_e32 v3, 0
.LBB6_6:
	s_or_b64 exec, exec, s[0:1]
	v_or_b32_e32 v5, s13, v3
	v_mov_b32_e32 v4, 0
	v_cmp_ne_u64_e32 vcc, 0, v[4:5]
                                        ; implicit-def: $vgpr4_vgpr5
	s_and_saveexec_b64 s[0:1], vcc
	s_xor_b64 s[6:7], exec, s[0:1]
	s_cbranch_execz .LBB6_8
; %bb.7:
	v_cvt_f32_u32_e32 v4, s12
	v_cvt_f32_u32_e32 v5, s13
	s_sub_u32 s15, 0, s12
	s_subb_u32 s17, 0, s13
	v_madmk_f32 v4, v5, 0x4f800000, v4
	v_rcp_f32_e32 v4, v4
	v_mul_f32_e32 v4, 0x5f7ffffc, v4
	v_mul_f32_e32 v5, 0x2f800000, v4
	v_trunc_f32_e32 v5, v5
	v_madmk_f32 v4, v5, 0xcf800000, v4
	v_cvt_u32_f32_e32 v5, v5
	v_cvt_u32_f32_e32 v4, v4
	v_readfirstlane_b32 s20, v5
	v_readfirstlane_b32 s0, v4
	s_mul_i32 s1, s15, s20
	s_mul_hi_u32 s22, s15, s0
	s_mul_i32 s21, s17, s0
	s_add_i32 s1, s22, s1
	s_mul_i32 s23, s15, s0
	s_add_i32 s1, s1, s21
	s_mul_i32 s22, s0, s1
	s_mul_hi_u32 s24, s0, s23
	s_mul_hi_u32 s21, s0, s1
	s_add_u32 s22, s24, s22
	s_addc_u32 s21, 0, s21
	s_mul_hi_u32 s25, s20, s23
	s_mul_i32 s23, s20, s23
	s_add_u32 s22, s22, s23
	s_mul_hi_u32 s24, s20, s1
	s_addc_u32 s21, s21, s25
	s_addc_u32 s22, s24, 0
	s_mul_i32 s1, s20, s1
	s_add_u32 s1, s21, s1
	s_addc_u32 s21, 0, s22
	s_add_u32 s22, s0, s1
	s_cselect_b64 s[0:1], -1, 0
	s_cmp_lg_u64 s[0:1], 0
	s_addc_u32 s20, s20, s21
	s_mul_i32 s0, s15, s20
	s_mul_hi_u32 s1, s15, s22
	s_add_i32 s0, s1, s0
	s_mul_i32 s17, s17, s22
	s_add_i32 s0, s0, s17
	s_mul_i32 s15, s15, s22
	s_mul_hi_u32 s17, s20, s15
	s_mul_i32 s21, s20, s15
	s_mul_i32 s24, s22, s0
	s_mul_hi_u32 s15, s22, s15
	s_mul_hi_u32 s23, s22, s0
	s_add_u32 s15, s15, s24
	s_addc_u32 s23, 0, s23
	s_add_u32 s15, s15, s21
	s_mul_hi_u32 s1, s20, s0
	s_addc_u32 s15, s23, s17
	s_addc_u32 s1, s1, 0
	s_mul_i32 s0, s20, s0
	s_add_u32 s0, s15, s0
	s_addc_u32 s15, 0, s1
	s_add_u32 s17, s22, s0
	s_cselect_b64 s[0:1], -1, 0
	s_cmp_lg_u64 s[0:1], 0
	s_addc_u32 s15, s20, s15
	v_mad_u64_u32 v[4:5], s[0:1], v2, s15, 0
	v_mul_hi_u32 v6, v2, s17
	v_add_co_u32_e32 v8, vcc, v6, v4
	v_addc_co_u32_e32 v9, vcc, 0, v5, vcc
	v_mad_u64_u32 v[4:5], s[0:1], v3, s17, 0
	v_mad_u64_u32 v[6:7], s[0:1], v3, s15, 0
	v_add_co_u32_e32 v4, vcc, v8, v4
	v_addc_co_u32_e32 v4, vcc, v9, v5, vcc
	v_addc_co_u32_e32 v5, vcc, 0, v7, vcc
	v_add_co_u32_e32 v4, vcc, v4, v6
	v_addc_co_u32_e32 v5, vcc, 0, v5, vcc
	v_mul_lo_u32 v6, s13, v4
	v_mul_lo_u32 v7, s12, v5
	v_mad_u64_u32 v[4:5], s[0:1], s12, v4, 0
	v_add3_u32 v5, v5, v7, v6
	v_sub_u32_e32 v6, v3, v5
	v_mov_b32_e32 v7, s13
	v_sub_co_u32_e32 v4, vcc, v2, v4
	v_subb_co_u32_e64 v6, s[0:1], v6, v7, vcc
	v_subrev_co_u32_e64 v7, s[0:1], s12, v4
	v_subbrev_co_u32_e64 v6, s[0:1], 0, v6, s[0:1]
	v_cmp_le_u32_e64 s[0:1], s13, v6
	v_subb_co_u32_e32 v3, vcc, v3, v5, vcc
	v_cndmask_b32_e64 v8, 0, -1, s[0:1]
	v_cmp_le_u32_e64 s[0:1], s12, v7
	v_cmp_le_u32_e32 vcc, s13, v3
	v_cndmask_b32_e64 v9, 0, -1, s[0:1]
	v_cmp_eq_u32_e64 s[0:1], s13, v6
	v_cndmask_b32_e64 v5, 0, -1, vcc
	v_cmp_le_u32_e32 vcc, s12, v4
	v_cndmask_b32_e64 v6, v8, v9, s[0:1]
	v_cndmask_b32_e64 v9, 0, -1, vcc
	v_cmp_eq_u32_e32 vcc, s13, v3
	v_subrev_co_u32_e64 v8, s[0:1], s12, v7
	v_cndmask_b32_e32 v3, v5, v9, vcc
	v_cmp_ne_u32_e32 vcc, 0, v6
	v_cndmask_b32_e32 v5, v7, v8, vcc
	v_cmp_ne_u32_e32 vcc, 0, v3
	v_cndmask_b32_e32 v4, v4, v5, vcc
.LBB6_8:
	s_andn2_saveexec_b64 s[0:1], s[6:7]
	s_cbranch_execz .LBB6_10
; %bb.9:
	v_cvt_f32_u32_e32 v3, s12
	s_sub_i32 s6, 0, s12
	v_rcp_iflag_f32_e32 v3, v3
	v_mul_f32_e32 v3, 0x4f7ffffe, v3
	v_cvt_u32_f32_e32 v3, v3
	v_mul_lo_u32 v4, s6, v3
	v_mul_hi_u32 v4, v3, v4
	v_add_u32_e32 v3, v3, v4
	v_mul_hi_u32 v3, v2, v3
	v_mul_lo_u32 v3, v3, s12
	v_sub_u32_e32 v3, v2, v3
	v_subrev_u32_e32 v4, s12, v3
	v_cmp_le_u32_e32 vcc, s12, v3
	v_cndmask_b32_e32 v3, v3, v4, vcc
	v_subrev_u32_e32 v4, s12, v3
	v_cmp_le_u32_e32 vcc, s12, v3
	v_cndmask_b32_e32 v4, v3, v4, vcc
.LBB6_10:
	s_or_b64 exec, exec, s[0:1]
	v_mul_lo_u32 v2, v2, s16
	s_load_dword s0, s[4:5], 0x30
	s_add_i32 s1, s14, -1
	v_mov_b32_e32 v6, s19
	v_sub_u32_e32 v2, v0, v2
	v_cvt_f32_i32_e32 v2, v2
	s_mul_i32 s6, s14, s12
	s_mov_b64 s[4:5], 0
	v_add_f32_e32 v2, 0.5, v2
	s_waitcnt lgkmcnt(0)
	v_mul_f32_e32 v2, s0, v2
	v_floor_f32_e32 v2, v2
	v_cvt_i32_f32_e32 v5, v2
	v_lshlrev_b64 v[2:3], 2, v[0:1]
	v_add_co_u32_e32 v2, vcc, s18, v2
	v_min_i32_e32 v0, s1, v5
	v_mad_u64_u32 v[0:1], s[0:1], v4, s14, v[0:1]
	s_bfe_i64 s[0:1], s[2:3], 0x200000
	s_lshl_b64 s[2:3], s[0:1], 2
	v_addc_co_u32_e32 v3, vcc, v6, v3, vcc
	v_mov_b32_e32 v4, s9
	v_mov_b32_e32 v5, s3
.LBB6_11:                               ; =>This Inner Loop Header: Depth=1
	v_ashrrev_i32_e32 v1, 31, v0
	v_lshlrev_b64 v[6:7], 2, v[0:1]
	s_add_u32 s4, s4, 1
	v_add_co_u32_e32 v6, vcc, s8, v6
	v_addc_co_u32_e32 v7, vcc, v4, v7, vcc
	global_load_dword v1, v[6:7], off
	s_addc_u32 s5, s5, 0
	v_mov_b32_e32 v7, s5
	v_mov_b32_e32 v6, s4
	v_cmp_gt_u64_e32 vcc, s[10:11], v[6:7]
	v_add_u32_e32 v0, s6, v0
	s_and_b64 vcc, exec, vcc
	s_waitcnt vmcnt(0)
	global_store_dword v[2:3], v1, off
	v_add_co_u32_e64 v2, s[0:1], s2, v2
	v_addc_co_u32_e64 v3, s[0:1], v3, v5, s[0:1]
	s_cbranch_vccnz .LBB6_11
.LBB6_12:
	s_endpgm
	.section	.rodata,"a",@progbits
	.p2align	6, 0x0
	.amdhsa_kernel _ZN2at6native12_GLOBAL__N_128upsample_nearest1d_out_frameIfXadL_ZNS0_43nearest_neighbor_exact_compute_source_indexEfiiEEEEvPKT_mmmmPS3_f
		.amdhsa_group_segment_fixed_size 0
		.amdhsa_private_segment_fixed_size 0
		.amdhsa_kernarg_size 312
		.amdhsa_user_sgpr_count 6
		.amdhsa_user_sgpr_private_segment_buffer 1
		.amdhsa_user_sgpr_dispatch_ptr 0
		.amdhsa_user_sgpr_queue_ptr 0
		.amdhsa_user_sgpr_kernarg_segment_ptr 1
		.amdhsa_user_sgpr_dispatch_id 0
		.amdhsa_user_sgpr_flat_scratch_init 0
		.amdhsa_user_sgpr_private_segment_size 0
		.amdhsa_uses_dynamic_stack 0
		.amdhsa_system_sgpr_private_segment_wavefront_offset 0
		.amdhsa_system_sgpr_workgroup_id_x 1
		.amdhsa_system_sgpr_workgroup_id_y 0
		.amdhsa_system_sgpr_workgroup_id_z 0
		.amdhsa_system_sgpr_workgroup_info 0
		.amdhsa_system_vgpr_workitem_id 0
		.amdhsa_next_free_vgpr 11
		.amdhsa_next_free_sgpr 27
		.amdhsa_reserve_vcc 1
		.amdhsa_reserve_flat_scratch 0
		.amdhsa_float_round_mode_32 0
		.amdhsa_float_round_mode_16_64 0
		.amdhsa_float_denorm_mode_32 3
		.amdhsa_float_denorm_mode_16_64 3
		.amdhsa_dx10_clamp 1
		.amdhsa_ieee_mode 1
		.amdhsa_fp16_overflow 0
		.amdhsa_exception_fp_ieee_invalid_op 0
		.amdhsa_exception_fp_denorm_src 0
		.amdhsa_exception_fp_ieee_div_zero 0
		.amdhsa_exception_fp_ieee_overflow 0
		.amdhsa_exception_fp_ieee_underflow 0
		.amdhsa_exception_fp_ieee_inexact 0
		.amdhsa_exception_int_div_zero 0
	.end_amdhsa_kernel
	.section	.text._ZN2at6native12_GLOBAL__N_128upsample_nearest1d_out_frameIfXadL_ZNS0_43nearest_neighbor_exact_compute_source_indexEfiiEEEEvPKT_mmmmPS3_f,"axG",@progbits,_ZN2at6native12_GLOBAL__N_128upsample_nearest1d_out_frameIfXadL_ZNS0_43nearest_neighbor_exact_compute_source_indexEfiiEEEEvPKT_mmmmPS3_f,comdat
.Lfunc_end6:
	.size	_ZN2at6native12_GLOBAL__N_128upsample_nearest1d_out_frameIfXadL_ZNS0_43nearest_neighbor_exact_compute_source_indexEfiiEEEEvPKT_mmmmPS3_f, .Lfunc_end6-_ZN2at6native12_GLOBAL__N_128upsample_nearest1d_out_frameIfXadL_ZNS0_43nearest_neighbor_exact_compute_source_indexEfiiEEEEvPKT_mmmmPS3_f
                                        ; -- End function
	.set _ZN2at6native12_GLOBAL__N_128upsample_nearest1d_out_frameIfXadL_ZNS0_43nearest_neighbor_exact_compute_source_indexEfiiEEEEvPKT_mmmmPS3_f.num_vgpr, 11
	.set _ZN2at6native12_GLOBAL__N_128upsample_nearest1d_out_frameIfXadL_ZNS0_43nearest_neighbor_exact_compute_source_indexEfiiEEEEvPKT_mmmmPS3_f.num_agpr, 0
	.set _ZN2at6native12_GLOBAL__N_128upsample_nearest1d_out_frameIfXadL_ZNS0_43nearest_neighbor_exact_compute_source_indexEfiiEEEEvPKT_mmmmPS3_f.numbered_sgpr, 27
	.set _ZN2at6native12_GLOBAL__N_128upsample_nearest1d_out_frameIfXadL_ZNS0_43nearest_neighbor_exact_compute_source_indexEfiiEEEEvPKT_mmmmPS3_f.num_named_barrier, 0
	.set _ZN2at6native12_GLOBAL__N_128upsample_nearest1d_out_frameIfXadL_ZNS0_43nearest_neighbor_exact_compute_source_indexEfiiEEEEvPKT_mmmmPS3_f.private_seg_size, 0
	.set _ZN2at6native12_GLOBAL__N_128upsample_nearest1d_out_frameIfXadL_ZNS0_43nearest_neighbor_exact_compute_source_indexEfiiEEEEvPKT_mmmmPS3_f.uses_vcc, 1
	.set _ZN2at6native12_GLOBAL__N_128upsample_nearest1d_out_frameIfXadL_ZNS0_43nearest_neighbor_exact_compute_source_indexEfiiEEEEvPKT_mmmmPS3_f.uses_flat_scratch, 0
	.set _ZN2at6native12_GLOBAL__N_128upsample_nearest1d_out_frameIfXadL_ZNS0_43nearest_neighbor_exact_compute_source_indexEfiiEEEEvPKT_mmmmPS3_f.has_dyn_sized_stack, 0
	.set _ZN2at6native12_GLOBAL__N_128upsample_nearest1d_out_frameIfXadL_ZNS0_43nearest_neighbor_exact_compute_source_indexEfiiEEEEvPKT_mmmmPS3_f.has_recursion, 0
	.set _ZN2at6native12_GLOBAL__N_128upsample_nearest1d_out_frameIfXadL_ZNS0_43nearest_neighbor_exact_compute_source_indexEfiiEEEEvPKT_mmmmPS3_f.has_indirect_call, 0
	.section	.AMDGPU.csdata,"",@progbits
; Kernel info:
; codeLenInByte = 1612
; TotalNumSgprs: 31
; NumVgprs: 11
; ScratchSize: 0
; MemoryBound: 0
; FloatMode: 240
; IeeeMode: 1
; LDSByteSize: 0 bytes/workgroup (compile time only)
; SGPRBlocks: 3
; VGPRBlocks: 2
; NumSGPRsForWavesPerEU: 31
; NumVGPRsForWavesPerEU: 11
; Occupancy: 10
; WaveLimiterHint : 0
; COMPUTE_PGM_RSRC2:SCRATCH_EN: 0
; COMPUTE_PGM_RSRC2:USER_SGPR: 6
; COMPUTE_PGM_RSRC2:TRAP_HANDLER: 0
; COMPUTE_PGM_RSRC2:TGID_X_EN: 1
; COMPUTE_PGM_RSRC2:TGID_Y_EN: 0
; COMPUTE_PGM_RSRC2:TGID_Z_EN: 0
; COMPUTE_PGM_RSRC2:TIDIG_COMP_CNT: 0
	.section	.text._ZN2at6native12_GLOBAL__N_128upsample_nearest1d_out_frameIN3c104HalfEXadL_ZNS0_43nearest_neighbor_exact_compute_source_indexEfiiEEEEvPKT_mmmmPS5_f,"axG",@progbits,_ZN2at6native12_GLOBAL__N_128upsample_nearest1d_out_frameIN3c104HalfEXadL_ZNS0_43nearest_neighbor_exact_compute_source_indexEfiiEEEEvPKT_mmmmPS5_f,comdat
	.globl	_ZN2at6native12_GLOBAL__N_128upsample_nearest1d_out_frameIN3c104HalfEXadL_ZNS0_43nearest_neighbor_exact_compute_source_indexEfiiEEEEvPKT_mmmmPS5_f ; -- Begin function _ZN2at6native12_GLOBAL__N_128upsample_nearest1d_out_frameIN3c104HalfEXadL_ZNS0_43nearest_neighbor_exact_compute_source_indexEfiiEEEEvPKT_mmmmPS5_f
	.p2align	8
	.type	_ZN2at6native12_GLOBAL__N_128upsample_nearest1d_out_frameIN3c104HalfEXadL_ZNS0_43nearest_neighbor_exact_compute_source_indexEfiiEEEEvPKT_mmmmPS5_f,@function
_ZN2at6native12_GLOBAL__N_128upsample_nearest1d_out_frameIN3c104HalfEXadL_ZNS0_43nearest_neighbor_exact_compute_source_indexEfiiEEEEvPKT_mmmmPS5_f: ; @_ZN2at6native12_GLOBAL__N_128upsample_nearest1d_out_frameIN3c104HalfEXadL_ZNS0_43nearest_neighbor_exact_compute_source_indexEfiiEEEEvPKT_mmmmPS5_f
; %bb.0:
	s_load_dword s0, s[4:5], 0x44
	s_load_dwordx4 s[16:19], s[4:5], 0x20
	s_load_dwordx8 s[8:15], s[4:5], 0x0
	s_waitcnt lgkmcnt(0)
	s_and_b32 s0, s0, 0xffff
	s_mul_i32 s6, s6, s0
	s_mul_i32 s0, s16, s13
	s_mul_hi_u32 s1, s16, s12
	v_add_u32_e32 v0, s6, v0
	s_add_i32 s0, s1, s0
	s_mul_i32 s1, s17, s12
	v_ashrrev_i32_e32 v1, 31, v0
	s_add_i32 s3, s0, s1
	s_mul_i32 s2, s16, s12
	v_cmp_gt_u64_e32 vcc, s[2:3], v[0:1]
	s_and_saveexec_b64 s[0:1], vcc
	s_cbranch_execz .LBB7_12
; %bb.1:
	s_cmp_eq_u64 s[10:11], 0
	s_cbranch_scc1 .LBB7_12
; %bb.2:
	v_or_b32_e32 v3, s17, v1
	v_mov_b32_e32 v2, 0
	v_cmp_ne_u64_e32 vcc, 0, v[2:3]
                                        ; implicit-def: $vgpr2_vgpr3
	s_and_saveexec_b64 s[0:1], vcc
	s_xor_b64 s[6:7], exec, s[0:1]
	s_cbranch_execz .LBB7_4
; %bb.3:
	v_cvt_f32_u32_e32 v2, s16
	v_cvt_f32_u32_e32 v3, s17
	s_sub_u32 s15, 0, s16
	s_subb_u32 s20, 0, s17
	v_madmk_f32 v2, v3, 0x4f800000, v2
	v_rcp_f32_e32 v2, v2
	v_mul_f32_e32 v2, 0x5f7ffffc, v2
	v_mul_f32_e32 v3, 0x2f800000, v2
	v_trunc_f32_e32 v3, v3
	v_madmk_f32 v2, v3, 0xcf800000, v2
	v_cvt_u32_f32_e32 v3, v3
	v_cvt_u32_f32_e32 v2, v2
	v_readfirstlane_b32 s21, v3
	v_readfirstlane_b32 s0, v2
	s_mul_i32 s1, s15, s21
	s_mul_hi_u32 s23, s15, s0
	s_mul_i32 s22, s20, s0
	s_add_i32 s1, s23, s1
	s_mul_i32 s24, s15, s0
	s_add_i32 s1, s1, s22
	s_mul_i32 s23, s0, s1
	s_mul_hi_u32 s25, s0, s24
	s_mul_hi_u32 s22, s0, s1
	s_add_u32 s23, s25, s23
	s_addc_u32 s22, 0, s22
	s_mul_hi_u32 s26, s21, s24
	s_mul_i32 s24, s21, s24
	s_add_u32 s23, s23, s24
	s_mul_hi_u32 s25, s21, s1
	s_addc_u32 s22, s22, s26
	s_addc_u32 s23, s25, 0
	s_mul_i32 s1, s21, s1
	s_add_u32 s1, s22, s1
	s_addc_u32 s22, 0, s23
	s_add_u32 s23, s0, s1
	s_cselect_b64 s[0:1], -1, 0
	s_cmp_lg_u64 s[0:1], 0
	s_addc_u32 s21, s21, s22
	s_mul_i32 s0, s15, s21
	s_mul_hi_u32 s1, s15, s23
	s_add_i32 s0, s1, s0
	s_mul_i32 s20, s20, s23
	s_add_i32 s0, s0, s20
	s_mul_i32 s15, s15, s23
	s_mul_hi_u32 s20, s21, s15
	s_mul_i32 s22, s21, s15
	s_mul_i32 s25, s23, s0
	s_mul_hi_u32 s15, s23, s15
	s_mul_hi_u32 s24, s23, s0
	s_add_u32 s15, s15, s25
	s_addc_u32 s24, 0, s24
	s_add_u32 s15, s15, s22
	s_mul_hi_u32 s1, s21, s0
	s_addc_u32 s15, s24, s20
	s_addc_u32 s1, s1, 0
	s_mul_i32 s0, s21, s0
	s_add_u32 s0, s15, s0
	s_addc_u32 s15, 0, s1
	s_add_u32 s20, s23, s0
	s_cselect_b64 s[0:1], -1, 0
	s_cmp_lg_u64 s[0:1], 0
	s_addc_u32 s15, s21, s15
	v_mad_u64_u32 v[2:3], s[0:1], v0, s15, 0
	v_mul_hi_u32 v4, v0, s20
	v_add_co_u32_e32 v6, vcc, v4, v2
	v_addc_co_u32_e32 v7, vcc, 0, v3, vcc
	v_mad_u64_u32 v[2:3], s[0:1], v1, s20, 0
	v_mad_u64_u32 v[4:5], s[0:1], v1, s15, 0
	v_add_co_u32_e32 v2, vcc, v6, v2
	v_addc_co_u32_e32 v2, vcc, v7, v3, vcc
	v_addc_co_u32_e32 v3, vcc, 0, v5, vcc
	v_add_co_u32_e32 v4, vcc, v2, v4
	v_addc_co_u32_e32 v5, vcc, 0, v3, vcc
	v_mul_lo_u32 v6, s17, v4
	v_mul_lo_u32 v7, s16, v5
	v_mad_u64_u32 v[2:3], s[0:1], s16, v4, 0
	v_add3_u32 v3, v3, v7, v6
	v_sub_u32_e32 v6, v1, v3
	v_mov_b32_e32 v7, s17
	v_sub_co_u32_e32 v2, vcc, v0, v2
	v_subb_co_u32_e64 v6, s[0:1], v6, v7, vcc
	v_subrev_co_u32_e64 v7, s[0:1], s16, v2
	v_subbrev_co_u32_e64 v6, s[0:1], 0, v6, s[0:1]
	v_cmp_le_u32_e64 s[0:1], s17, v6
	v_cndmask_b32_e64 v8, 0, -1, s[0:1]
	v_cmp_le_u32_e64 s[0:1], s16, v7
	v_cndmask_b32_e64 v7, 0, -1, s[0:1]
	v_cmp_eq_u32_e64 s[0:1], s17, v6
	v_cndmask_b32_e64 v6, v8, v7, s[0:1]
	v_add_co_u32_e64 v7, s[0:1], 2, v4
	v_addc_co_u32_e64 v8, s[0:1], 0, v5, s[0:1]
	v_add_co_u32_e64 v9, s[0:1], 1, v4
	v_addc_co_u32_e64 v10, s[0:1], 0, v5, s[0:1]
	v_subb_co_u32_e32 v3, vcc, v1, v3, vcc
	v_cmp_ne_u32_e64 s[0:1], 0, v6
	v_cmp_le_u32_e32 vcc, s17, v3
	v_cndmask_b32_e64 v6, v10, v8, s[0:1]
	v_cndmask_b32_e64 v8, 0, -1, vcc
	v_cmp_le_u32_e32 vcc, s16, v2
	v_cndmask_b32_e64 v2, 0, -1, vcc
	v_cmp_eq_u32_e32 vcc, s17, v3
	v_cndmask_b32_e32 v2, v8, v2, vcc
	v_cmp_ne_u32_e32 vcc, 0, v2
	v_cndmask_b32_e64 v2, v9, v7, s[0:1]
	v_cndmask_b32_e32 v3, v5, v6, vcc
	v_cndmask_b32_e32 v2, v4, v2, vcc
.LBB7_4:
	s_andn2_saveexec_b64 s[0:1], s[6:7]
	s_cbranch_execz .LBB7_6
; %bb.5:
	v_cvt_f32_u32_e32 v2, s16
	s_sub_i32 s6, 0, s16
	v_rcp_iflag_f32_e32 v2, v2
	v_mul_f32_e32 v2, 0x4f7ffffe, v2
	v_cvt_u32_f32_e32 v2, v2
	v_mul_lo_u32 v3, s6, v2
	v_mul_hi_u32 v3, v2, v3
	v_add_u32_e32 v2, v2, v3
	v_mul_hi_u32 v2, v0, v2
	v_mul_lo_u32 v3, v2, s16
	v_add_u32_e32 v4, 1, v2
	v_sub_u32_e32 v3, v0, v3
	v_subrev_u32_e32 v5, s16, v3
	v_cmp_le_u32_e32 vcc, s16, v3
	v_cndmask_b32_e32 v3, v3, v5, vcc
	v_cndmask_b32_e32 v2, v2, v4, vcc
	v_add_u32_e32 v4, 1, v2
	v_cmp_le_u32_e32 vcc, s16, v3
	v_cndmask_b32_e32 v2, v2, v4, vcc
	v_mov_b32_e32 v3, 0
.LBB7_6:
	s_or_b64 exec, exec, s[0:1]
	v_or_b32_e32 v5, s13, v3
	v_mov_b32_e32 v4, 0
	v_cmp_ne_u64_e32 vcc, 0, v[4:5]
                                        ; implicit-def: $vgpr4_vgpr5
	s_and_saveexec_b64 s[0:1], vcc
	s_xor_b64 s[6:7], exec, s[0:1]
	s_cbranch_execz .LBB7_8
; %bb.7:
	v_cvt_f32_u32_e32 v4, s12
	v_cvt_f32_u32_e32 v5, s13
	s_sub_u32 s15, 0, s12
	s_subb_u32 s17, 0, s13
	v_madmk_f32 v4, v5, 0x4f800000, v4
	v_rcp_f32_e32 v4, v4
	v_mul_f32_e32 v4, 0x5f7ffffc, v4
	v_mul_f32_e32 v5, 0x2f800000, v4
	v_trunc_f32_e32 v5, v5
	v_madmk_f32 v4, v5, 0xcf800000, v4
	v_cvt_u32_f32_e32 v5, v5
	v_cvt_u32_f32_e32 v4, v4
	v_readfirstlane_b32 s20, v5
	v_readfirstlane_b32 s0, v4
	s_mul_i32 s1, s15, s20
	s_mul_hi_u32 s22, s15, s0
	s_mul_i32 s21, s17, s0
	s_add_i32 s1, s22, s1
	s_mul_i32 s23, s15, s0
	s_add_i32 s1, s1, s21
	s_mul_i32 s22, s0, s1
	s_mul_hi_u32 s24, s0, s23
	s_mul_hi_u32 s21, s0, s1
	s_add_u32 s22, s24, s22
	s_addc_u32 s21, 0, s21
	s_mul_hi_u32 s25, s20, s23
	s_mul_i32 s23, s20, s23
	s_add_u32 s22, s22, s23
	s_mul_hi_u32 s24, s20, s1
	s_addc_u32 s21, s21, s25
	s_addc_u32 s22, s24, 0
	s_mul_i32 s1, s20, s1
	s_add_u32 s1, s21, s1
	s_addc_u32 s21, 0, s22
	s_add_u32 s22, s0, s1
	s_cselect_b64 s[0:1], -1, 0
	s_cmp_lg_u64 s[0:1], 0
	s_addc_u32 s20, s20, s21
	s_mul_i32 s0, s15, s20
	s_mul_hi_u32 s1, s15, s22
	s_add_i32 s0, s1, s0
	s_mul_i32 s17, s17, s22
	s_add_i32 s0, s0, s17
	s_mul_i32 s15, s15, s22
	s_mul_hi_u32 s17, s20, s15
	s_mul_i32 s21, s20, s15
	s_mul_i32 s24, s22, s0
	s_mul_hi_u32 s15, s22, s15
	s_mul_hi_u32 s23, s22, s0
	s_add_u32 s15, s15, s24
	s_addc_u32 s23, 0, s23
	s_add_u32 s15, s15, s21
	s_mul_hi_u32 s1, s20, s0
	s_addc_u32 s15, s23, s17
	s_addc_u32 s1, s1, 0
	s_mul_i32 s0, s20, s0
	s_add_u32 s0, s15, s0
	s_addc_u32 s15, 0, s1
	s_add_u32 s17, s22, s0
	s_cselect_b64 s[0:1], -1, 0
	s_cmp_lg_u64 s[0:1], 0
	s_addc_u32 s15, s20, s15
	v_mad_u64_u32 v[4:5], s[0:1], v2, s15, 0
	v_mul_hi_u32 v6, v2, s17
	v_add_co_u32_e32 v8, vcc, v6, v4
	v_addc_co_u32_e32 v9, vcc, 0, v5, vcc
	v_mad_u64_u32 v[4:5], s[0:1], v3, s17, 0
	v_mad_u64_u32 v[6:7], s[0:1], v3, s15, 0
	v_add_co_u32_e32 v4, vcc, v8, v4
	v_addc_co_u32_e32 v4, vcc, v9, v5, vcc
	v_addc_co_u32_e32 v5, vcc, 0, v7, vcc
	v_add_co_u32_e32 v4, vcc, v4, v6
	v_addc_co_u32_e32 v5, vcc, 0, v5, vcc
	v_mul_lo_u32 v6, s13, v4
	v_mul_lo_u32 v7, s12, v5
	v_mad_u64_u32 v[4:5], s[0:1], s12, v4, 0
	v_add3_u32 v5, v5, v7, v6
	v_sub_u32_e32 v6, v3, v5
	v_mov_b32_e32 v7, s13
	v_sub_co_u32_e32 v4, vcc, v2, v4
	v_subb_co_u32_e64 v6, s[0:1], v6, v7, vcc
	v_subrev_co_u32_e64 v7, s[0:1], s12, v4
	v_subbrev_co_u32_e64 v6, s[0:1], 0, v6, s[0:1]
	v_cmp_le_u32_e64 s[0:1], s13, v6
	v_subb_co_u32_e32 v3, vcc, v3, v5, vcc
	v_cndmask_b32_e64 v8, 0, -1, s[0:1]
	v_cmp_le_u32_e64 s[0:1], s12, v7
	v_cmp_le_u32_e32 vcc, s13, v3
	v_cndmask_b32_e64 v9, 0, -1, s[0:1]
	v_cmp_eq_u32_e64 s[0:1], s13, v6
	v_cndmask_b32_e64 v5, 0, -1, vcc
	v_cmp_le_u32_e32 vcc, s12, v4
	v_cndmask_b32_e64 v6, v8, v9, s[0:1]
	v_cndmask_b32_e64 v9, 0, -1, vcc
	v_cmp_eq_u32_e32 vcc, s13, v3
	v_subrev_co_u32_e64 v8, s[0:1], s12, v7
	v_cndmask_b32_e32 v3, v5, v9, vcc
	v_cmp_ne_u32_e32 vcc, 0, v6
	v_cndmask_b32_e32 v5, v7, v8, vcc
	v_cmp_ne_u32_e32 vcc, 0, v3
	v_cndmask_b32_e32 v4, v4, v5, vcc
.LBB7_8:
	s_andn2_saveexec_b64 s[0:1], s[6:7]
	s_cbranch_execz .LBB7_10
; %bb.9:
	v_cvt_f32_u32_e32 v3, s12
	s_sub_i32 s6, 0, s12
	v_rcp_iflag_f32_e32 v3, v3
	v_mul_f32_e32 v3, 0x4f7ffffe, v3
	v_cvt_u32_f32_e32 v3, v3
	v_mul_lo_u32 v4, s6, v3
	v_mul_hi_u32 v4, v3, v4
	v_add_u32_e32 v3, v3, v4
	v_mul_hi_u32 v3, v2, v3
	v_mul_lo_u32 v3, v3, s12
	v_sub_u32_e32 v3, v2, v3
	v_subrev_u32_e32 v4, s12, v3
	v_cmp_le_u32_e32 vcc, s12, v3
	v_cndmask_b32_e32 v3, v3, v4, vcc
	v_subrev_u32_e32 v4, s12, v3
	v_cmp_le_u32_e32 vcc, s12, v3
	v_cndmask_b32_e32 v4, v3, v4, vcc
.LBB7_10:
	s_or_b64 exec, exec, s[0:1]
	v_mul_lo_u32 v2, v2, s16
	s_load_dword s0, s[4:5], 0x30
	s_add_i32 s1, s14, -1
	v_mov_b32_e32 v6, s19
	v_sub_u32_e32 v2, v0, v2
	v_cvt_f32_i32_e32 v2, v2
	s_mul_i32 s6, s14, s12
	s_mov_b64 s[4:5], 0
	v_add_f32_e32 v2, 0.5, v2
	s_waitcnt lgkmcnt(0)
	v_mul_f32_e32 v2, s0, v2
	v_floor_f32_e32 v2, v2
	v_cvt_i32_f32_e32 v5, v2
	v_lshlrev_b64 v[2:3], 1, v[0:1]
	v_add_co_u32_e32 v2, vcc, s18, v2
	v_min_i32_e32 v0, s1, v5
	v_mad_u64_u32 v[0:1], s[0:1], v4, s14, v[0:1]
	s_bfe_i64 s[0:1], s[2:3], 0x200000
	s_lshl_b64 s[2:3], s[0:1], 1
	v_addc_co_u32_e32 v3, vcc, v6, v3, vcc
	v_mov_b32_e32 v4, s9
	v_mov_b32_e32 v5, s3
.LBB7_11:                               ; =>This Inner Loop Header: Depth=1
	v_ashrrev_i32_e32 v1, 31, v0
	v_lshlrev_b64 v[6:7], 1, v[0:1]
	s_add_u32 s4, s4, 1
	v_add_co_u32_e32 v6, vcc, s8, v6
	v_addc_co_u32_e32 v7, vcc, v4, v7, vcc
	global_load_ushort v1, v[6:7], off
	s_addc_u32 s5, s5, 0
	v_mov_b32_e32 v7, s5
	v_mov_b32_e32 v6, s4
	v_cmp_gt_u64_e32 vcc, s[10:11], v[6:7]
	v_add_u32_e32 v0, s6, v0
	s_and_b64 vcc, exec, vcc
	s_waitcnt vmcnt(0)
	global_store_short v[2:3], v1, off
	v_add_co_u32_e64 v2, s[0:1], s2, v2
	v_addc_co_u32_e64 v3, s[0:1], v3, v5, s[0:1]
	s_cbranch_vccnz .LBB7_11
.LBB7_12:
	s_endpgm
	.section	.rodata,"a",@progbits
	.p2align	6, 0x0
	.amdhsa_kernel _ZN2at6native12_GLOBAL__N_128upsample_nearest1d_out_frameIN3c104HalfEXadL_ZNS0_43nearest_neighbor_exact_compute_source_indexEfiiEEEEvPKT_mmmmPS5_f
		.amdhsa_group_segment_fixed_size 0
		.amdhsa_private_segment_fixed_size 0
		.amdhsa_kernarg_size 312
		.amdhsa_user_sgpr_count 6
		.amdhsa_user_sgpr_private_segment_buffer 1
		.amdhsa_user_sgpr_dispatch_ptr 0
		.amdhsa_user_sgpr_queue_ptr 0
		.amdhsa_user_sgpr_kernarg_segment_ptr 1
		.amdhsa_user_sgpr_dispatch_id 0
		.amdhsa_user_sgpr_flat_scratch_init 0
		.amdhsa_user_sgpr_private_segment_size 0
		.amdhsa_uses_dynamic_stack 0
		.amdhsa_system_sgpr_private_segment_wavefront_offset 0
		.amdhsa_system_sgpr_workgroup_id_x 1
		.amdhsa_system_sgpr_workgroup_id_y 0
		.amdhsa_system_sgpr_workgroup_id_z 0
		.amdhsa_system_sgpr_workgroup_info 0
		.amdhsa_system_vgpr_workitem_id 0
		.amdhsa_next_free_vgpr 11
		.amdhsa_next_free_sgpr 27
		.amdhsa_reserve_vcc 1
		.amdhsa_reserve_flat_scratch 0
		.amdhsa_float_round_mode_32 0
		.amdhsa_float_round_mode_16_64 0
		.amdhsa_float_denorm_mode_32 3
		.amdhsa_float_denorm_mode_16_64 3
		.amdhsa_dx10_clamp 1
		.amdhsa_ieee_mode 1
		.amdhsa_fp16_overflow 0
		.amdhsa_exception_fp_ieee_invalid_op 0
		.amdhsa_exception_fp_denorm_src 0
		.amdhsa_exception_fp_ieee_div_zero 0
		.amdhsa_exception_fp_ieee_overflow 0
		.amdhsa_exception_fp_ieee_underflow 0
		.amdhsa_exception_fp_ieee_inexact 0
		.amdhsa_exception_int_div_zero 0
	.end_amdhsa_kernel
	.section	.text._ZN2at6native12_GLOBAL__N_128upsample_nearest1d_out_frameIN3c104HalfEXadL_ZNS0_43nearest_neighbor_exact_compute_source_indexEfiiEEEEvPKT_mmmmPS5_f,"axG",@progbits,_ZN2at6native12_GLOBAL__N_128upsample_nearest1d_out_frameIN3c104HalfEXadL_ZNS0_43nearest_neighbor_exact_compute_source_indexEfiiEEEEvPKT_mmmmPS5_f,comdat
.Lfunc_end7:
	.size	_ZN2at6native12_GLOBAL__N_128upsample_nearest1d_out_frameIN3c104HalfEXadL_ZNS0_43nearest_neighbor_exact_compute_source_indexEfiiEEEEvPKT_mmmmPS5_f, .Lfunc_end7-_ZN2at6native12_GLOBAL__N_128upsample_nearest1d_out_frameIN3c104HalfEXadL_ZNS0_43nearest_neighbor_exact_compute_source_indexEfiiEEEEvPKT_mmmmPS5_f
                                        ; -- End function
	.set _ZN2at6native12_GLOBAL__N_128upsample_nearest1d_out_frameIN3c104HalfEXadL_ZNS0_43nearest_neighbor_exact_compute_source_indexEfiiEEEEvPKT_mmmmPS5_f.num_vgpr, 11
	.set _ZN2at6native12_GLOBAL__N_128upsample_nearest1d_out_frameIN3c104HalfEXadL_ZNS0_43nearest_neighbor_exact_compute_source_indexEfiiEEEEvPKT_mmmmPS5_f.num_agpr, 0
	.set _ZN2at6native12_GLOBAL__N_128upsample_nearest1d_out_frameIN3c104HalfEXadL_ZNS0_43nearest_neighbor_exact_compute_source_indexEfiiEEEEvPKT_mmmmPS5_f.numbered_sgpr, 27
	.set _ZN2at6native12_GLOBAL__N_128upsample_nearest1d_out_frameIN3c104HalfEXadL_ZNS0_43nearest_neighbor_exact_compute_source_indexEfiiEEEEvPKT_mmmmPS5_f.num_named_barrier, 0
	.set _ZN2at6native12_GLOBAL__N_128upsample_nearest1d_out_frameIN3c104HalfEXadL_ZNS0_43nearest_neighbor_exact_compute_source_indexEfiiEEEEvPKT_mmmmPS5_f.private_seg_size, 0
	.set _ZN2at6native12_GLOBAL__N_128upsample_nearest1d_out_frameIN3c104HalfEXadL_ZNS0_43nearest_neighbor_exact_compute_source_indexEfiiEEEEvPKT_mmmmPS5_f.uses_vcc, 1
	.set _ZN2at6native12_GLOBAL__N_128upsample_nearest1d_out_frameIN3c104HalfEXadL_ZNS0_43nearest_neighbor_exact_compute_source_indexEfiiEEEEvPKT_mmmmPS5_f.uses_flat_scratch, 0
	.set _ZN2at6native12_GLOBAL__N_128upsample_nearest1d_out_frameIN3c104HalfEXadL_ZNS0_43nearest_neighbor_exact_compute_source_indexEfiiEEEEvPKT_mmmmPS5_f.has_dyn_sized_stack, 0
	.set _ZN2at6native12_GLOBAL__N_128upsample_nearest1d_out_frameIN3c104HalfEXadL_ZNS0_43nearest_neighbor_exact_compute_source_indexEfiiEEEEvPKT_mmmmPS5_f.has_recursion, 0
	.set _ZN2at6native12_GLOBAL__N_128upsample_nearest1d_out_frameIN3c104HalfEXadL_ZNS0_43nearest_neighbor_exact_compute_source_indexEfiiEEEEvPKT_mmmmPS5_f.has_indirect_call, 0
	.section	.AMDGPU.csdata,"",@progbits
; Kernel info:
; codeLenInByte = 1612
; TotalNumSgprs: 31
; NumVgprs: 11
; ScratchSize: 0
; MemoryBound: 0
; FloatMode: 240
; IeeeMode: 1
; LDSByteSize: 0 bytes/workgroup (compile time only)
; SGPRBlocks: 3
; VGPRBlocks: 2
; NumSGPRsForWavesPerEU: 31
; NumVGPRsForWavesPerEU: 11
; Occupancy: 10
; WaveLimiterHint : 0
; COMPUTE_PGM_RSRC2:SCRATCH_EN: 0
; COMPUTE_PGM_RSRC2:USER_SGPR: 6
; COMPUTE_PGM_RSRC2:TRAP_HANDLER: 0
; COMPUTE_PGM_RSRC2:TGID_X_EN: 1
; COMPUTE_PGM_RSRC2:TGID_Y_EN: 0
; COMPUTE_PGM_RSRC2:TGID_Z_EN: 0
; COMPUTE_PGM_RSRC2:TIDIG_COMP_CNT: 0
	.section	.text._ZN2at6native12_GLOBAL__N_128upsample_nearest1d_out_frameIN3c108BFloat16EXadL_ZNS0_43nearest_neighbor_exact_compute_source_indexEfiiEEEEvPKT_mmmmPS5_f,"axG",@progbits,_ZN2at6native12_GLOBAL__N_128upsample_nearest1d_out_frameIN3c108BFloat16EXadL_ZNS0_43nearest_neighbor_exact_compute_source_indexEfiiEEEEvPKT_mmmmPS5_f,comdat
	.globl	_ZN2at6native12_GLOBAL__N_128upsample_nearest1d_out_frameIN3c108BFloat16EXadL_ZNS0_43nearest_neighbor_exact_compute_source_indexEfiiEEEEvPKT_mmmmPS5_f ; -- Begin function _ZN2at6native12_GLOBAL__N_128upsample_nearest1d_out_frameIN3c108BFloat16EXadL_ZNS0_43nearest_neighbor_exact_compute_source_indexEfiiEEEEvPKT_mmmmPS5_f
	.p2align	8
	.type	_ZN2at6native12_GLOBAL__N_128upsample_nearest1d_out_frameIN3c108BFloat16EXadL_ZNS0_43nearest_neighbor_exact_compute_source_indexEfiiEEEEvPKT_mmmmPS5_f,@function
_ZN2at6native12_GLOBAL__N_128upsample_nearest1d_out_frameIN3c108BFloat16EXadL_ZNS0_43nearest_neighbor_exact_compute_source_indexEfiiEEEEvPKT_mmmmPS5_f: ; @_ZN2at6native12_GLOBAL__N_128upsample_nearest1d_out_frameIN3c108BFloat16EXadL_ZNS0_43nearest_neighbor_exact_compute_source_indexEfiiEEEEvPKT_mmmmPS5_f
; %bb.0:
	s_load_dword s0, s[4:5], 0x44
	s_load_dwordx4 s[16:19], s[4:5], 0x20
	s_load_dwordx8 s[8:15], s[4:5], 0x0
	s_waitcnt lgkmcnt(0)
	s_and_b32 s0, s0, 0xffff
	s_mul_i32 s6, s6, s0
	s_mul_i32 s0, s16, s13
	s_mul_hi_u32 s1, s16, s12
	v_add_u32_e32 v0, s6, v0
	s_add_i32 s0, s1, s0
	s_mul_i32 s1, s17, s12
	v_ashrrev_i32_e32 v1, 31, v0
	s_add_i32 s3, s0, s1
	s_mul_i32 s2, s16, s12
	v_cmp_gt_u64_e32 vcc, s[2:3], v[0:1]
	s_and_saveexec_b64 s[0:1], vcc
	s_cbranch_execz .LBB8_12
; %bb.1:
	s_cmp_eq_u64 s[10:11], 0
	s_cbranch_scc1 .LBB8_12
; %bb.2:
	v_or_b32_e32 v3, s17, v1
	v_mov_b32_e32 v2, 0
	v_cmp_ne_u64_e32 vcc, 0, v[2:3]
                                        ; implicit-def: $vgpr2_vgpr3
	s_and_saveexec_b64 s[0:1], vcc
	s_xor_b64 s[6:7], exec, s[0:1]
	s_cbranch_execz .LBB8_4
; %bb.3:
	v_cvt_f32_u32_e32 v2, s16
	v_cvt_f32_u32_e32 v3, s17
	s_sub_u32 s15, 0, s16
	s_subb_u32 s20, 0, s17
	v_madmk_f32 v2, v3, 0x4f800000, v2
	v_rcp_f32_e32 v2, v2
	v_mul_f32_e32 v2, 0x5f7ffffc, v2
	v_mul_f32_e32 v3, 0x2f800000, v2
	v_trunc_f32_e32 v3, v3
	v_madmk_f32 v2, v3, 0xcf800000, v2
	v_cvt_u32_f32_e32 v3, v3
	v_cvt_u32_f32_e32 v2, v2
	v_readfirstlane_b32 s21, v3
	v_readfirstlane_b32 s0, v2
	s_mul_i32 s1, s15, s21
	s_mul_hi_u32 s23, s15, s0
	s_mul_i32 s22, s20, s0
	s_add_i32 s1, s23, s1
	s_mul_i32 s24, s15, s0
	s_add_i32 s1, s1, s22
	s_mul_i32 s23, s0, s1
	s_mul_hi_u32 s25, s0, s24
	s_mul_hi_u32 s22, s0, s1
	s_add_u32 s23, s25, s23
	s_addc_u32 s22, 0, s22
	s_mul_hi_u32 s26, s21, s24
	s_mul_i32 s24, s21, s24
	s_add_u32 s23, s23, s24
	s_mul_hi_u32 s25, s21, s1
	s_addc_u32 s22, s22, s26
	s_addc_u32 s23, s25, 0
	s_mul_i32 s1, s21, s1
	s_add_u32 s1, s22, s1
	s_addc_u32 s22, 0, s23
	s_add_u32 s23, s0, s1
	s_cselect_b64 s[0:1], -1, 0
	s_cmp_lg_u64 s[0:1], 0
	s_addc_u32 s21, s21, s22
	s_mul_i32 s0, s15, s21
	s_mul_hi_u32 s1, s15, s23
	s_add_i32 s0, s1, s0
	s_mul_i32 s20, s20, s23
	s_add_i32 s0, s0, s20
	s_mul_i32 s15, s15, s23
	s_mul_hi_u32 s20, s21, s15
	s_mul_i32 s22, s21, s15
	s_mul_i32 s25, s23, s0
	s_mul_hi_u32 s15, s23, s15
	s_mul_hi_u32 s24, s23, s0
	s_add_u32 s15, s15, s25
	s_addc_u32 s24, 0, s24
	s_add_u32 s15, s15, s22
	s_mul_hi_u32 s1, s21, s0
	s_addc_u32 s15, s24, s20
	s_addc_u32 s1, s1, 0
	s_mul_i32 s0, s21, s0
	s_add_u32 s0, s15, s0
	s_addc_u32 s15, 0, s1
	s_add_u32 s20, s23, s0
	s_cselect_b64 s[0:1], -1, 0
	s_cmp_lg_u64 s[0:1], 0
	s_addc_u32 s15, s21, s15
	v_mad_u64_u32 v[2:3], s[0:1], v0, s15, 0
	v_mul_hi_u32 v4, v0, s20
	v_add_co_u32_e32 v6, vcc, v4, v2
	v_addc_co_u32_e32 v7, vcc, 0, v3, vcc
	v_mad_u64_u32 v[2:3], s[0:1], v1, s20, 0
	v_mad_u64_u32 v[4:5], s[0:1], v1, s15, 0
	v_add_co_u32_e32 v2, vcc, v6, v2
	v_addc_co_u32_e32 v2, vcc, v7, v3, vcc
	v_addc_co_u32_e32 v3, vcc, 0, v5, vcc
	v_add_co_u32_e32 v4, vcc, v2, v4
	v_addc_co_u32_e32 v5, vcc, 0, v3, vcc
	v_mul_lo_u32 v6, s17, v4
	v_mul_lo_u32 v7, s16, v5
	v_mad_u64_u32 v[2:3], s[0:1], s16, v4, 0
	v_add3_u32 v3, v3, v7, v6
	v_sub_u32_e32 v6, v1, v3
	v_mov_b32_e32 v7, s17
	v_sub_co_u32_e32 v2, vcc, v0, v2
	v_subb_co_u32_e64 v6, s[0:1], v6, v7, vcc
	v_subrev_co_u32_e64 v7, s[0:1], s16, v2
	v_subbrev_co_u32_e64 v6, s[0:1], 0, v6, s[0:1]
	v_cmp_le_u32_e64 s[0:1], s17, v6
	v_cndmask_b32_e64 v8, 0, -1, s[0:1]
	v_cmp_le_u32_e64 s[0:1], s16, v7
	v_cndmask_b32_e64 v7, 0, -1, s[0:1]
	v_cmp_eq_u32_e64 s[0:1], s17, v6
	v_cndmask_b32_e64 v6, v8, v7, s[0:1]
	v_add_co_u32_e64 v7, s[0:1], 2, v4
	v_addc_co_u32_e64 v8, s[0:1], 0, v5, s[0:1]
	v_add_co_u32_e64 v9, s[0:1], 1, v4
	v_addc_co_u32_e64 v10, s[0:1], 0, v5, s[0:1]
	v_subb_co_u32_e32 v3, vcc, v1, v3, vcc
	v_cmp_ne_u32_e64 s[0:1], 0, v6
	v_cmp_le_u32_e32 vcc, s17, v3
	v_cndmask_b32_e64 v6, v10, v8, s[0:1]
	v_cndmask_b32_e64 v8, 0, -1, vcc
	v_cmp_le_u32_e32 vcc, s16, v2
	v_cndmask_b32_e64 v2, 0, -1, vcc
	v_cmp_eq_u32_e32 vcc, s17, v3
	v_cndmask_b32_e32 v2, v8, v2, vcc
	v_cmp_ne_u32_e32 vcc, 0, v2
	v_cndmask_b32_e64 v2, v9, v7, s[0:1]
	v_cndmask_b32_e32 v3, v5, v6, vcc
	v_cndmask_b32_e32 v2, v4, v2, vcc
.LBB8_4:
	s_andn2_saveexec_b64 s[0:1], s[6:7]
	s_cbranch_execz .LBB8_6
; %bb.5:
	v_cvt_f32_u32_e32 v2, s16
	s_sub_i32 s6, 0, s16
	v_rcp_iflag_f32_e32 v2, v2
	v_mul_f32_e32 v2, 0x4f7ffffe, v2
	v_cvt_u32_f32_e32 v2, v2
	v_mul_lo_u32 v3, s6, v2
	v_mul_hi_u32 v3, v2, v3
	v_add_u32_e32 v2, v2, v3
	v_mul_hi_u32 v2, v0, v2
	v_mul_lo_u32 v3, v2, s16
	v_add_u32_e32 v4, 1, v2
	v_sub_u32_e32 v3, v0, v3
	v_subrev_u32_e32 v5, s16, v3
	v_cmp_le_u32_e32 vcc, s16, v3
	v_cndmask_b32_e32 v3, v3, v5, vcc
	v_cndmask_b32_e32 v2, v2, v4, vcc
	v_add_u32_e32 v4, 1, v2
	v_cmp_le_u32_e32 vcc, s16, v3
	v_cndmask_b32_e32 v2, v2, v4, vcc
	v_mov_b32_e32 v3, 0
.LBB8_6:
	s_or_b64 exec, exec, s[0:1]
	v_or_b32_e32 v5, s13, v3
	v_mov_b32_e32 v4, 0
	v_cmp_ne_u64_e32 vcc, 0, v[4:5]
                                        ; implicit-def: $vgpr4_vgpr5
	s_and_saveexec_b64 s[0:1], vcc
	s_xor_b64 s[6:7], exec, s[0:1]
	s_cbranch_execz .LBB8_8
; %bb.7:
	v_cvt_f32_u32_e32 v4, s12
	v_cvt_f32_u32_e32 v5, s13
	s_sub_u32 s15, 0, s12
	s_subb_u32 s17, 0, s13
	v_madmk_f32 v4, v5, 0x4f800000, v4
	v_rcp_f32_e32 v4, v4
	v_mul_f32_e32 v4, 0x5f7ffffc, v4
	v_mul_f32_e32 v5, 0x2f800000, v4
	v_trunc_f32_e32 v5, v5
	v_madmk_f32 v4, v5, 0xcf800000, v4
	v_cvt_u32_f32_e32 v5, v5
	v_cvt_u32_f32_e32 v4, v4
	v_readfirstlane_b32 s20, v5
	v_readfirstlane_b32 s0, v4
	s_mul_i32 s1, s15, s20
	s_mul_hi_u32 s22, s15, s0
	s_mul_i32 s21, s17, s0
	s_add_i32 s1, s22, s1
	s_mul_i32 s23, s15, s0
	s_add_i32 s1, s1, s21
	s_mul_i32 s22, s0, s1
	s_mul_hi_u32 s24, s0, s23
	s_mul_hi_u32 s21, s0, s1
	s_add_u32 s22, s24, s22
	s_addc_u32 s21, 0, s21
	s_mul_hi_u32 s25, s20, s23
	s_mul_i32 s23, s20, s23
	s_add_u32 s22, s22, s23
	s_mul_hi_u32 s24, s20, s1
	s_addc_u32 s21, s21, s25
	s_addc_u32 s22, s24, 0
	s_mul_i32 s1, s20, s1
	s_add_u32 s1, s21, s1
	s_addc_u32 s21, 0, s22
	s_add_u32 s22, s0, s1
	s_cselect_b64 s[0:1], -1, 0
	s_cmp_lg_u64 s[0:1], 0
	s_addc_u32 s20, s20, s21
	s_mul_i32 s0, s15, s20
	s_mul_hi_u32 s1, s15, s22
	s_add_i32 s0, s1, s0
	s_mul_i32 s17, s17, s22
	s_add_i32 s0, s0, s17
	s_mul_i32 s15, s15, s22
	s_mul_hi_u32 s17, s20, s15
	s_mul_i32 s21, s20, s15
	s_mul_i32 s24, s22, s0
	s_mul_hi_u32 s15, s22, s15
	s_mul_hi_u32 s23, s22, s0
	s_add_u32 s15, s15, s24
	s_addc_u32 s23, 0, s23
	s_add_u32 s15, s15, s21
	s_mul_hi_u32 s1, s20, s0
	s_addc_u32 s15, s23, s17
	s_addc_u32 s1, s1, 0
	s_mul_i32 s0, s20, s0
	s_add_u32 s0, s15, s0
	s_addc_u32 s15, 0, s1
	s_add_u32 s17, s22, s0
	s_cselect_b64 s[0:1], -1, 0
	s_cmp_lg_u64 s[0:1], 0
	s_addc_u32 s15, s20, s15
	v_mad_u64_u32 v[4:5], s[0:1], v2, s15, 0
	v_mul_hi_u32 v6, v2, s17
	v_add_co_u32_e32 v8, vcc, v6, v4
	v_addc_co_u32_e32 v9, vcc, 0, v5, vcc
	v_mad_u64_u32 v[4:5], s[0:1], v3, s17, 0
	v_mad_u64_u32 v[6:7], s[0:1], v3, s15, 0
	v_add_co_u32_e32 v4, vcc, v8, v4
	v_addc_co_u32_e32 v4, vcc, v9, v5, vcc
	v_addc_co_u32_e32 v5, vcc, 0, v7, vcc
	v_add_co_u32_e32 v4, vcc, v4, v6
	v_addc_co_u32_e32 v5, vcc, 0, v5, vcc
	v_mul_lo_u32 v6, s13, v4
	v_mul_lo_u32 v7, s12, v5
	v_mad_u64_u32 v[4:5], s[0:1], s12, v4, 0
	v_add3_u32 v5, v5, v7, v6
	v_sub_u32_e32 v6, v3, v5
	v_mov_b32_e32 v7, s13
	v_sub_co_u32_e32 v4, vcc, v2, v4
	v_subb_co_u32_e64 v6, s[0:1], v6, v7, vcc
	v_subrev_co_u32_e64 v7, s[0:1], s12, v4
	v_subbrev_co_u32_e64 v6, s[0:1], 0, v6, s[0:1]
	v_cmp_le_u32_e64 s[0:1], s13, v6
	v_subb_co_u32_e32 v3, vcc, v3, v5, vcc
	v_cndmask_b32_e64 v8, 0, -1, s[0:1]
	v_cmp_le_u32_e64 s[0:1], s12, v7
	v_cmp_le_u32_e32 vcc, s13, v3
	v_cndmask_b32_e64 v9, 0, -1, s[0:1]
	v_cmp_eq_u32_e64 s[0:1], s13, v6
	v_cndmask_b32_e64 v5, 0, -1, vcc
	v_cmp_le_u32_e32 vcc, s12, v4
	v_cndmask_b32_e64 v6, v8, v9, s[0:1]
	v_cndmask_b32_e64 v9, 0, -1, vcc
	v_cmp_eq_u32_e32 vcc, s13, v3
	v_subrev_co_u32_e64 v8, s[0:1], s12, v7
	v_cndmask_b32_e32 v3, v5, v9, vcc
	v_cmp_ne_u32_e32 vcc, 0, v6
	v_cndmask_b32_e32 v5, v7, v8, vcc
	v_cmp_ne_u32_e32 vcc, 0, v3
	v_cndmask_b32_e32 v4, v4, v5, vcc
.LBB8_8:
	s_andn2_saveexec_b64 s[0:1], s[6:7]
	s_cbranch_execz .LBB8_10
; %bb.9:
	v_cvt_f32_u32_e32 v3, s12
	s_sub_i32 s6, 0, s12
	v_rcp_iflag_f32_e32 v3, v3
	v_mul_f32_e32 v3, 0x4f7ffffe, v3
	v_cvt_u32_f32_e32 v3, v3
	v_mul_lo_u32 v4, s6, v3
	v_mul_hi_u32 v4, v3, v4
	v_add_u32_e32 v3, v3, v4
	v_mul_hi_u32 v3, v2, v3
	v_mul_lo_u32 v3, v3, s12
	v_sub_u32_e32 v3, v2, v3
	v_subrev_u32_e32 v4, s12, v3
	v_cmp_le_u32_e32 vcc, s12, v3
	v_cndmask_b32_e32 v3, v3, v4, vcc
	v_subrev_u32_e32 v4, s12, v3
	v_cmp_le_u32_e32 vcc, s12, v3
	v_cndmask_b32_e32 v4, v3, v4, vcc
.LBB8_10:
	s_or_b64 exec, exec, s[0:1]
	v_mul_lo_u32 v2, v2, s16
	s_load_dword s0, s[4:5], 0x30
	s_add_i32 s1, s14, -1
	v_mov_b32_e32 v6, s19
	v_sub_u32_e32 v2, v0, v2
	v_cvt_f32_i32_e32 v2, v2
	s_mul_i32 s6, s14, s12
	s_mov_b64 s[4:5], 0
	v_add_f32_e32 v2, 0.5, v2
	s_waitcnt lgkmcnt(0)
	v_mul_f32_e32 v2, s0, v2
	v_floor_f32_e32 v2, v2
	v_cvt_i32_f32_e32 v5, v2
	v_lshlrev_b64 v[2:3], 1, v[0:1]
	v_add_co_u32_e32 v2, vcc, s18, v2
	v_min_i32_e32 v0, s1, v5
	v_mad_u64_u32 v[0:1], s[0:1], v4, s14, v[0:1]
	s_bfe_i64 s[0:1], s[2:3], 0x200000
	s_lshl_b64 s[2:3], s[0:1], 1
	v_addc_co_u32_e32 v3, vcc, v6, v3, vcc
	v_mov_b32_e32 v4, s9
	v_mov_b32_e32 v5, s3
.LBB8_11:                               ; =>This Inner Loop Header: Depth=1
	v_ashrrev_i32_e32 v1, 31, v0
	v_lshlrev_b64 v[6:7], 1, v[0:1]
	s_add_u32 s4, s4, 1
	v_add_co_u32_e32 v6, vcc, s8, v6
	v_addc_co_u32_e32 v7, vcc, v4, v7, vcc
	global_load_ushort v1, v[6:7], off
	s_addc_u32 s5, s5, 0
	v_mov_b32_e32 v7, s5
	v_mov_b32_e32 v6, s4
	v_cmp_gt_u64_e32 vcc, s[10:11], v[6:7]
	v_add_u32_e32 v0, s6, v0
	s_and_b64 vcc, exec, vcc
	s_waitcnt vmcnt(0)
	global_store_short v[2:3], v1, off
	v_add_co_u32_e64 v2, s[0:1], s2, v2
	v_addc_co_u32_e64 v3, s[0:1], v3, v5, s[0:1]
	s_cbranch_vccnz .LBB8_11
.LBB8_12:
	s_endpgm
	.section	.rodata,"a",@progbits
	.p2align	6, 0x0
	.amdhsa_kernel _ZN2at6native12_GLOBAL__N_128upsample_nearest1d_out_frameIN3c108BFloat16EXadL_ZNS0_43nearest_neighbor_exact_compute_source_indexEfiiEEEEvPKT_mmmmPS5_f
		.amdhsa_group_segment_fixed_size 0
		.amdhsa_private_segment_fixed_size 0
		.amdhsa_kernarg_size 312
		.amdhsa_user_sgpr_count 6
		.amdhsa_user_sgpr_private_segment_buffer 1
		.amdhsa_user_sgpr_dispatch_ptr 0
		.amdhsa_user_sgpr_queue_ptr 0
		.amdhsa_user_sgpr_kernarg_segment_ptr 1
		.amdhsa_user_sgpr_dispatch_id 0
		.amdhsa_user_sgpr_flat_scratch_init 0
		.amdhsa_user_sgpr_private_segment_size 0
		.amdhsa_uses_dynamic_stack 0
		.amdhsa_system_sgpr_private_segment_wavefront_offset 0
		.amdhsa_system_sgpr_workgroup_id_x 1
		.amdhsa_system_sgpr_workgroup_id_y 0
		.amdhsa_system_sgpr_workgroup_id_z 0
		.amdhsa_system_sgpr_workgroup_info 0
		.amdhsa_system_vgpr_workitem_id 0
		.amdhsa_next_free_vgpr 11
		.amdhsa_next_free_sgpr 27
		.amdhsa_reserve_vcc 1
		.amdhsa_reserve_flat_scratch 0
		.amdhsa_float_round_mode_32 0
		.amdhsa_float_round_mode_16_64 0
		.amdhsa_float_denorm_mode_32 3
		.amdhsa_float_denorm_mode_16_64 3
		.amdhsa_dx10_clamp 1
		.amdhsa_ieee_mode 1
		.amdhsa_fp16_overflow 0
		.amdhsa_exception_fp_ieee_invalid_op 0
		.amdhsa_exception_fp_denorm_src 0
		.amdhsa_exception_fp_ieee_div_zero 0
		.amdhsa_exception_fp_ieee_overflow 0
		.amdhsa_exception_fp_ieee_underflow 0
		.amdhsa_exception_fp_ieee_inexact 0
		.amdhsa_exception_int_div_zero 0
	.end_amdhsa_kernel
	.section	.text._ZN2at6native12_GLOBAL__N_128upsample_nearest1d_out_frameIN3c108BFloat16EXadL_ZNS0_43nearest_neighbor_exact_compute_source_indexEfiiEEEEvPKT_mmmmPS5_f,"axG",@progbits,_ZN2at6native12_GLOBAL__N_128upsample_nearest1d_out_frameIN3c108BFloat16EXadL_ZNS0_43nearest_neighbor_exact_compute_source_indexEfiiEEEEvPKT_mmmmPS5_f,comdat
.Lfunc_end8:
	.size	_ZN2at6native12_GLOBAL__N_128upsample_nearest1d_out_frameIN3c108BFloat16EXadL_ZNS0_43nearest_neighbor_exact_compute_source_indexEfiiEEEEvPKT_mmmmPS5_f, .Lfunc_end8-_ZN2at6native12_GLOBAL__N_128upsample_nearest1d_out_frameIN3c108BFloat16EXadL_ZNS0_43nearest_neighbor_exact_compute_source_indexEfiiEEEEvPKT_mmmmPS5_f
                                        ; -- End function
	.set _ZN2at6native12_GLOBAL__N_128upsample_nearest1d_out_frameIN3c108BFloat16EXadL_ZNS0_43nearest_neighbor_exact_compute_source_indexEfiiEEEEvPKT_mmmmPS5_f.num_vgpr, 11
	.set _ZN2at6native12_GLOBAL__N_128upsample_nearest1d_out_frameIN3c108BFloat16EXadL_ZNS0_43nearest_neighbor_exact_compute_source_indexEfiiEEEEvPKT_mmmmPS5_f.num_agpr, 0
	.set _ZN2at6native12_GLOBAL__N_128upsample_nearest1d_out_frameIN3c108BFloat16EXadL_ZNS0_43nearest_neighbor_exact_compute_source_indexEfiiEEEEvPKT_mmmmPS5_f.numbered_sgpr, 27
	.set _ZN2at6native12_GLOBAL__N_128upsample_nearest1d_out_frameIN3c108BFloat16EXadL_ZNS0_43nearest_neighbor_exact_compute_source_indexEfiiEEEEvPKT_mmmmPS5_f.num_named_barrier, 0
	.set _ZN2at6native12_GLOBAL__N_128upsample_nearest1d_out_frameIN3c108BFloat16EXadL_ZNS0_43nearest_neighbor_exact_compute_source_indexEfiiEEEEvPKT_mmmmPS5_f.private_seg_size, 0
	.set _ZN2at6native12_GLOBAL__N_128upsample_nearest1d_out_frameIN3c108BFloat16EXadL_ZNS0_43nearest_neighbor_exact_compute_source_indexEfiiEEEEvPKT_mmmmPS5_f.uses_vcc, 1
	.set _ZN2at6native12_GLOBAL__N_128upsample_nearest1d_out_frameIN3c108BFloat16EXadL_ZNS0_43nearest_neighbor_exact_compute_source_indexEfiiEEEEvPKT_mmmmPS5_f.uses_flat_scratch, 0
	.set _ZN2at6native12_GLOBAL__N_128upsample_nearest1d_out_frameIN3c108BFloat16EXadL_ZNS0_43nearest_neighbor_exact_compute_source_indexEfiiEEEEvPKT_mmmmPS5_f.has_dyn_sized_stack, 0
	.set _ZN2at6native12_GLOBAL__N_128upsample_nearest1d_out_frameIN3c108BFloat16EXadL_ZNS0_43nearest_neighbor_exact_compute_source_indexEfiiEEEEvPKT_mmmmPS5_f.has_recursion, 0
	.set _ZN2at6native12_GLOBAL__N_128upsample_nearest1d_out_frameIN3c108BFloat16EXadL_ZNS0_43nearest_neighbor_exact_compute_source_indexEfiiEEEEvPKT_mmmmPS5_f.has_indirect_call, 0
	.section	.AMDGPU.csdata,"",@progbits
; Kernel info:
; codeLenInByte = 1612
; TotalNumSgprs: 31
; NumVgprs: 11
; ScratchSize: 0
; MemoryBound: 0
; FloatMode: 240
; IeeeMode: 1
; LDSByteSize: 0 bytes/workgroup (compile time only)
; SGPRBlocks: 3
; VGPRBlocks: 2
; NumSGPRsForWavesPerEU: 31
; NumVGPRsForWavesPerEU: 11
; Occupancy: 10
; WaveLimiterHint : 0
; COMPUTE_PGM_RSRC2:SCRATCH_EN: 0
; COMPUTE_PGM_RSRC2:USER_SGPR: 6
; COMPUTE_PGM_RSRC2:TRAP_HANDLER: 0
; COMPUTE_PGM_RSRC2:TGID_X_EN: 1
; COMPUTE_PGM_RSRC2:TGID_Y_EN: 0
; COMPUTE_PGM_RSRC2:TGID_Z_EN: 0
; COMPUTE_PGM_RSRC2:TIDIG_COMP_CNT: 0
	.section	.text._ZN2at6native12_GLOBAL__N_128upsample_nearest1d_out_frameIhXadL_ZNS0_43nearest_neighbor_exact_compute_source_indexEfiiEEEEvPKT_mmmmPS3_f,"axG",@progbits,_ZN2at6native12_GLOBAL__N_128upsample_nearest1d_out_frameIhXadL_ZNS0_43nearest_neighbor_exact_compute_source_indexEfiiEEEEvPKT_mmmmPS3_f,comdat
	.globl	_ZN2at6native12_GLOBAL__N_128upsample_nearest1d_out_frameIhXadL_ZNS0_43nearest_neighbor_exact_compute_source_indexEfiiEEEEvPKT_mmmmPS3_f ; -- Begin function _ZN2at6native12_GLOBAL__N_128upsample_nearest1d_out_frameIhXadL_ZNS0_43nearest_neighbor_exact_compute_source_indexEfiiEEEEvPKT_mmmmPS3_f
	.p2align	8
	.type	_ZN2at6native12_GLOBAL__N_128upsample_nearest1d_out_frameIhXadL_ZNS0_43nearest_neighbor_exact_compute_source_indexEfiiEEEEvPKT_mmmmPS3_f,@function
_ZN2at6native12_GLOBAL__N_128upsample_nearest1d_out_frameIhXadL_ZNS0_43nearest_neighbor_exact_compute_source_indexEfiiEEEEvPKT_mmmmPS3_f: ; @_ZN2at6native12_GLOBAL__N_128upsample_nearest1d_out_frameIhXadL_ZNS0_43nearest_neighbor_exact_compute_source_indexEfiiEEEEvPKT_mmmmPS3_f
; %bb.0:
	s_load_dword s0, s[4:5], 0x44
	s_load_dwordx4 s[16:19], s[4:5], 0x20
	s_load_dwordx8 s[8:15], s[4:5], 0x0
	s_waitcnt lgkmcnt(0)
	s_and_b32 s0, s0, 0xffff
	s_mul_i32 s6, s6, s0
	s_mul_i32 s0, s16, s13
	s_mul_hi_u32 s1, s16, s12
	v_add_u32_e32 v0, s6, v0
	s_add_i32 s0, s1, s0
	s_mul_i32 s1, s17, s12
	v_ashrrev_i32_e32 v1, 31, v0
	s_add_i32 s3, s0, s1
	s_mul_i32 s2, s16, s12
	v_cmp_gt_u64_e32 vcc, s[2:3], v[0:1]
	s_and_saveexec_b64 s[0:1], vcc
	s_cbranch_execz .LBB9_12
; %bb.1:
	s_cmp_eq_u64 s[10:11], 0
	s_cbranch_scc1 .LBB9_12
; %bb.2:
	v_or_b32_e32 v3, s17, v1
	v_mov_b32_e32 v2, 0
	v_cmp_ne_u64_e32 vcc, 0, v[2:3]
                                        ; implicit-def: $vgpr2_vgpr3
	s_and_saveexec_b64 s[0:1], vcc
	s_xor_b64 s[6:7], exec, s[0:1]
	s_cbranch_execz .LBB9_4
; %bb.3:
	v_cvt_f32_u32_e32 v2, s16
	v_cvt_f32_u32_e32 v3, s17
	s_sub_u32 s15, 0, s16
	s_subb_u32 s20, 0, s17
	v_madmk_f32 v2, v3, 0x4f800000, v2
	v_rcp_f32_e32 v2, v2
	v_mul_f32_e32 v2, 0x5f7ffffc, v2
	v_mul_f32_e32 v3, 0x2f800000, v2
	v_trunc_f32_e32 v3, v3
	v_madmk_f32 v2, v3, 0xcf800000, v2
	v_cvt_u32_f32_e32 v3, v3
	v_cvt_u32_f32_e32 v2, v2
	v_readfirstlane_b32 s21, v3
	v_readfirstlane_b32 s0, v2
	s_mul_i32 s1, s15, s21
	s_mul_hi_u32 s23, s15, s0
	s_mul_i32 s22, s20, s0
	s_add_i32 s1, s23, s1
	s_mul_i32 s24, s15, s0
	s_add_i32 s1, s1, s22
	s_mul_i32 s23, s0, s1
	s_mul_hi_u32 s25, s0, s24
	s_mul_hi_u32 s22, s0, s1
	s_add_u32 s23, s25, s23
	s_addc_u32 s22, 0, s22
	s_mul_hi_u32 s26, s21, s24
	s_mul_i32 s24, s21, s24
	s_add_u32 s23, s23, s24
	s_mul_hi_u32 s25, s21, s1
	s_addc_u32 s22, s22, s26
	s_addc_u32 s23, s25, 0
	s_mul_i32 s1, s21, s1
	s_add_u32 s1, s22, s1
	s_addc_u32 s22, 0, s23
	s_add_u32 s23, s0, s1
	s_cselect_b64 s[0:1], -1, 0
	s_cmp_lg_u64 s[0:1], 0
	s_addc_u32 s21, s21, s22
	s_mul_i32 s0, s15, s21
	s_mul_hi_u32 s1, s15, s23
	s_add_i32 s0, s1, s0
	s_mul_i32 s20, s20, s23
	s_add_i32 s0, s0, s20
	s_mul_i32 s15, s15, s23
	s_mul_hi_u32 s20, s21, s15
	s_mul_i32 s22, s21, s15
	s_mul_i32 s25, s23, s0
	s_mul_hi_u32 s15, s23, s15
	s_mul_hi_u32 s24, s23, s0
	s_add_u32 s15, s15, s25
	s_addc_u32 s24, 0, s24
	s_add_u32 s15, s15, s22
	s_mul_hi_u32 s1, s21, s0
	s_addc_u32 s15, s24, s20
	s_addc_u32 s1, s1, 0
	s_mul_i32 s0, s21, s0
	s_add_u32 s0, s15, s0
	s_addc_u32 s15, 0, s1
	s_add_u32 s20, s23, s0
	s_cselect_b64 s[0:1], -1, 0
	s_cmp_lg_u64 s[0:1], 0
	s_addc_u32 s15, s21, s15
	v_mad_u64_u32 v[2:3], s[0:1], v0, s15, 0
	v_mul_hi_u32 v4, v0, s20
	v_add_co_u32_e32 v6, vcc, v4, v2
	v_addc_co_u32_e32 v7, vcc, 0, v3, vcc
	v_mad_u64_u32 v[2:3], s[0:1], v1, s20, 0
	v_mad_u64_u32 v[4:5], s[0:1], v1, s15, 0
	v_add_co_u32_e32 v2, vcc, v6, v2
	v_addc_co_u32_e32 v2, vcc, v7, v3, vcc
	v_addc_co_u32_e32 v3, vcc, 0, v5, vcc
	v_add_co_u32_e32 v4, vcc, v2, v4
	v_addc_co_u32_e32 v5, vcc, 0, v3, vcc
	v_mul_lo_u32 v6, s17, v4
	v_mul_lo_u32 v7, s16, v5
	v_mad_u64_u32 v[2:3], s[0:1], s16, v4, 0
	v_add3_u32 v3, v3, v7, v6
	v_sub_u32_e32 v6, v1, v3
	v_mov_b32_e32 v7, s17
	v_sub_co_u32_e32 v2, vcc, v0, v2
	v_subb_co_u32_e64 v6, s[0:1], v6, v7, vcc
	v_subrev_co_u32_e64 v7, s[0:1], s16, v2
	v_subbrev_co_u32_e64 v6, s[0:1], 0, v6, s[0:1]
	v_cmp_le_u32_e64 s[0:1], s17, v6
	v_cndmask_b32_e64 v8, 0, -1, s[0:1]
	v_cmp_le_u32_e64 s[0:1], s16, v7
	v_cndmask_b32_e64 v7, 0, -1, s[0:1]
	v_cmp_eq_u32_e64 s[0:1], s17, v6
	v_cndmask_b32_e64 v6, v8, v7, s[0:1]
	v_add_co_u32_e64 v7, s[0:1], 2, v4
	v_addc_co_u32_e64 v8, s[0:1], 0, v5, s[0:1]
	v_add_co_u32_e64 v9, s[0:1], 1, v4
	v_addc_co_u32_e64 v10, s[0:1], 0, v5, s[0:1]
	v_subb_co_u32_e32 v3, vcc, v1, v3, vcc
	v_cmp_ne_u32_e64 s[0:1], 0, v6
	v_cmp_le_u32_e32 vcc, s17, v3
	v_cndmask_b32_e64 v6, v10, v8, s[0:1]
	v_cndmask_b32_e64 v8, 0, -1, vcc
	v_cmp_le_u32_e32 vcc, s16, v2
	v_cndmask_b32_e64 v2, 0, -1, vcc
	v_cmp_eq_u32_e32 vcc, s17, v3
	v_cndmask_b32_e32 v2, v8, v2, vcc
	v_cmp_ne_u32_e32 vcc, 0, v2
	v_cndmask_b32_e64 v2, v9, v7, s[0:1]
	v_cndmask_b32_e32 v3, v5, v6, vcc
	v_cndmask_b32_e32 v2, v4, v2, vcc
.LBB9_4:
	s_andn2_saveexec_b64 s[0:1], s[6:7]
	s_cbranch_execz .LBB9_6
; %bb.5:
	v_cvt_f32_u32_e32 v2, s16
	s_sub_i32 s6, 0, s16
	v_rcp_iflag_f32_e32 v2, v2
	v_mul_f32_e32 v2, 0x4f7ffffe, v2
	v_cvt_u32_f32_e32 v2, v2
	v_mul_lo_u32 v3, s6, v2
	v_mul_hi_u32 v3, v2, v3
	v_add_u32_e32 v2, v2, v3
	v_mul_hi_u32 v2, v0, v2
	v_mul_lo_u32 v3, v2, s16
	v_add_u32_e32 v4, 1, v2
	v_sub_u32_e32 v3, v0, v3
	v_subrev_u32_e32 v5, s16, v3
	v_cmp_le_u32_e32 vcc, s16, v3
	v_cndmask_b32_e32 v3, v3, v5, vcc
	v_cndmask_b32_e32 v2, v2, v4, vcc
	v_add_u32_e32 v4, 1, v2
	v_cmp_le_u32_e32 vcc, s16, v3
	v_cndmask_b32_e32 v2, v2, v4, vcc
	v_mov_b32_e32 v3, 0
.LBB9_6:
	s_or_b64 exec, exec, s[0:1]
	v_or_b32_e32 v5, s13, v3
	v_mov_b32_e32 v4, 0
	v_cmp_ne_u64_e32 vcc, 0, v[4:5]
                                        ; implicit-def: $vgpr4_vgpr5
	s_and_saveexec_b64 s[0:1], vcc
	s_xor_b64 s[6:7], exec, s[0:1]
	s_cbranch_execz .LBB9_8
; %bb.7:
	v_cvt_f32_u32_e32 v4, s12
	v_cvt_f32_u32_e32 v5, s13
	s_sub_u32 s15, 0, s12
	s_subb_u32 s17, 0, s13
	v_madmk_f32 v4, v5, 0x4f800000, v4
	v_rcp_f32_e32 v4, v4
	v_mul_f32_e32 v4, 0x5f7ffffc, v4
	v_mul_f32_e32 v5, 0x2f800000, v4
	v_trunc_f32_e32 v5, v5
	v_madmk_f32 v4, v5, 0xcf800000, v4
	v_cvt_u32_f32_e32 v5, v5
	v_cvt_u32_f32_e32 v4, v4
	v_readfirstlane_b32 s20, v5
	v_readfirstlane_b32 s0, v4
	s_mul_i32 s1, s15, s20
	s_mul_hi_u32 s22, s15, s0
	s_mul_i32 s21, s17, s0
	s_add_i32 s1, s22, s1
	s_mul_i32 s23, s15, s0
	s_add_i32 s1, s1, s21
	s_mul_i32 s22, s0, s1
	s_mul_hi_u32 s24, s0, s23
	s_mul_hi_u32 s21, s0, s1
	s_add_u32 s22, s24, s22
	s_addc_u32 s21, 0, s21
	s_mul_hi_u32 s25, s20, s23
	s_mul_i32 s23, s20, s23
	s_add_u32 s22, s22, s23
	s_mul_hi_u32 s24, s20, s1
	s_addc_u32 s21, s21, s25
	s_addc_u32 s22, s24, 0
	s_mul_i32 s1, s20, s1
	s_add_u32 s1, s21, s1
	s_addc_u32 s21, 0, s22
	s_add_u32 s22, s0, s1
	s_cselect_b64 s[0:1], -1, 0
	s_cmp_lg_u64 s[0:1], 0
	s_addc_u32 s20, s20, s21
	s_mul_i32 s0, s15, s20
	s_mul_hi_u32 s1, s15, s22
	s_add_i32 s0, s1, s0
	s_mul_i32 s17, s17, s22
	s_add_i32 s0, s0, s17
	s_mul_i32 s15, s15, s22
	s_mul_hi_u32 s17, s20, s15
	s_mul_i32 s21, s20, s15
	s_mul_i32 s24, s22, s0
	s_mul_hi_u32 s15, s22, s15
	s_mul_hi_u32 s23, s22, s0
	s_add_u32 s15, s15, s24
	s_addc_u32 s23, 0, s23
	s_add_u32 s15, s15, s21
	s_mul_hi_u32 s1, s20, s0
	s_addc_u32 s15, s23, s17
	s_addc_u32 s1, s1, 0
	s_mul_i32 s0, s20, s0
	s_add_u32 s0, s15, s0
	s_addc_u32 s15, 0, s1
	s_add_u32 s17, s22, s0
	s_cselect_b64 s[0:1], -1, 0
	s_cmp_lg_u64 s[0:1], 0
	s_addc_u32 s15, s20, s15
	v_mad_u64_u32 v[4:5], s[0:1], v2, s15, 0
	v_mul_hi_u32 v6, v2, s17
	v_add_co_u32_e32 v8, vcc, v6, v4
	v_addc_co_u32_e32 v9, vcc, 0, v5, vcc
	v_mad_u64_u32 v[4:5], s[0:1], v3, s17, 0
	v_mad_u64_u32 v[6:7], s[0:1], v3, s15, 0
	v_add_co_u32_e32 v4, vcc, v8, v4
	v_addc_co_u32_e32 v4, vcc, v9, v5, vcc
	v_addc_co_u32_e32 v5, vcc, 0, v7, vcc
	v_add_co_u32_e32 v4, vcc, v4, v6
	v_addc_co_u32_e32 v5, vcc, 0, v5, vcc
	v_mul_lo_u32 v6, s13, v4
	v_mul_lo_u32 v7, s12, v5
	v_mad_u64_u32 v[4:5], s[0:1], s12, v4, 0
	v_add3_u32 v5, v5, v7, v6
	v_sub_u32_e32 v6, v3, v5
	v_mov_b32_e32 v7, s13
	v_sub_co_u32_e32 v4, vcc, v2, v4
	v_subb_co_u32_e64 v6, s[0:1], v6, v7, vcc
	v_subrev_co_u32_e64 v7, s[0:1], s12, v4
	v_subbrev_co_u32_e64 v6, s[0:1], 0, v6, s[0:1]
	v_cmp_le_u32_e64 s[0:1], s13, v6
	v_subb_co_u32_e32 v3, vcc, v3, v5, vcc
	v_cndmask_b32_e64 v8, 0, -1, s[0:1]
	v_cmp_le_u32_e64 s[0:1], s12, v7
	v_cmp_le_u32_e32 vcc, s13, v3
	v_cndmask_b32_e64 v9, 0, -1, s[0:1]
	v_cmp_eq_u32_e64 s[0:1], s13, v6
	v_cndmask_b32_e64 v5, 0, -1, vcc
	v_cmp_le_u32_e32 vcc, s12, v4
	v_cndmask_b32_e64 v6, v8, v9, s[0:1]
	v_cndmask_b32_e64 v9, 0, -1, vcc
	v_cmp_eq_u32_e32 vcc, s13, v3
	v_subrev_co_u32_e64 v8, s[0:1], s12, v7
	v_cndmask_b32_e32 v3, v5, v9, vcc
	v_cmp_ne_u32_e32 vcc, 0, v6
	v_cndmask_b32_e32 v5, v7, v8, vcc
	v_cmp_ne_u32_e32 vcc, 0, v3
	v_cndmask_b32_e32 v4, v4, v5, vcc
.LBB9_8:
	s_andn2_saveexec_b64 s[0:1], s[6:7]
	s_cbranch_execz .LBB9_10
; %bb.9:
	v_cvt_f32_u32_e32 v3, s12
	s_sub_i32 s6, 0, s12
	v_rcp_iflag_f32_e32 v3, v3
	v_mul_f32_e32 v3, 0x4f7ffffe, v3
	v_cvt_u32_f32_e32 v3, v3
	v_mul_lo_u32 v4, s6, v3
	v_mul_hi_u32 v4, v3, v4
	v_add_u32_e32 v3, v3, v4
	v_mul_hi_u32 v3, v2, v3
	v_mul_lo_u32 v3, v3, s12
	v_sub_u32_e32 v3, v2, v3
	v_subrev_u32_e32 v4, s12, v3
	v_cmp_le_u32_e32 vcc, s12, v3
	v_cndmask_b32_e32 v3, v3, v4, vcc
	v_subrev_u32_e32 v4, s12, v3
	v_cmp_le_u32_e32 vcc, s12, v3
	v_cndmask_b32_e32 v4, v3, v4, vcc
.LBB9_10:
	s_or_b64 exec, exec, s[0:1]
	v_mul_lo_u32 v2, v2, s16
	s_load_dword s0, s[4:5], 0x30
	s_add_i32 s1, s14, -1
	v_mov_b32_e32 v3, s19
	v_sub_u32_e32 v2, v0, v2
	v_cvt_f32_i32_e32 v2, v2
	v_add_co_u32_e32 v0, vcc, s18, v0
	v_addc_co_u32_e32 v1, vcc, v3, v1, vcc
	v_add_f32_e32 v2, 0.5, v2
	s_waitcnt lgkmcnt(0)
	v_mul_f32_e32 v2, s0, v2
	v_floor_f32_e32 v2, v2
	v_cvt_i32_f32_e32 v2, v2
	s_bfe_i64 s[2:3], s[2:3], 0x200000
	s_mul_i32 s6, s14, s12
	s_mov_b64 s[4:5], 0
	v_min_i32_e32 v2, s1, v2
	v_mad_u64_u32 v[2:3], s[0:1], v4, s14, v[2:3]
	v_mov_b32_e32 v3, s9
	v_mov_b32_e32 v4, s3
.LBB9_11:                               ; =>This Inner Loop Header: Depth=1
	v_ashrrev_i32_e32 v6, 31, v2
	v_add_co_u32_e32 v5, vcc, s8, v2
	v_addc_co_u32_e32 v6, vcc, v3, v6, vcc
	global_load_ubyte v7, v[5:6], off
	s_add_u32 s4, s4, 1
	s_addc_u32 s5, s5, 0
	v_mov_b32_e32 v6, s5
	v_mov_b32_e32 v5, s4
	v_cmp_gt_u64_e32 vcc, s[10:11], v[5:6]
	v_add_u32_e32 v2, s6, v2
	s_and_b64 vcc, exec, vcc
	s_waitcnt vmcnt(0)
	global_store_byte v[0:1], v7, off
	v_add_co_u32_e64 v0, s[0:1], s2, v0
	v_addc_co_u32_e64 v1, s[0:1], v1, v4, s[0:1]
	s_cbranch_vccnz .LBB9_11
.LBB9_12:
	s_endpgm
	.section	.rodata,"a",@progbits
	.p2align	6, 0x0
	.amdhsa_kernel _ZN2at6native12_GLOBAL__N_128upsample_nearest1d_out_frameIhXadL_ZNS0_43nearest_neighbor_exact_compute_source_indexEfiiEEEEvPKT_mmmmPS3_f
		.amdhsa_group_segment_fixed_size 0
		.amdhsa_private_segment_fixed_size 0
		.amdhsa_kernarg_size 312
		.amdhsa_user_sgpr_count 6
		.amdhsa_user_sgpr_private_segment_buffer 1
		.amdhsa_user_sgpr_dispatch_ptr 0
		.amdhsa_user_sgpr_queue_ptr 0
		.amdhsa_user_sgpr_kernarg_segment_ptr 1
		.amdhsa_user_sgpr_dispatch_id 0
		.amdhsa_user_sgpr_flat_scratch_init 0
		.amdhsa_user_sgpr_private_segment_size 0
		.amdhsa_uses_dynamic_stack 0
		.amdhsa_system_sgpr_private_segment_wavefront_offset 0
		.amdhsa_system_sgpr_workgroup_id_x 1
		.amdhsa_system_sgpr_workgroup_id_y 0
		.amdhsa_system_sgpr_workgroup_id_z 0
		.amdhsa_system_sgpr_workgroup_info 0
		.amdhsa_system_vgpr_workitem_id 0
		.amdhsa_next_free_vgpr 11
		.amdhsa_next_free_sgpr 27
		.amdhsa_reserve_vcc 1
		.amdhsa_reserve_flat_scratch 0
		.amdhsa_float_round_mode_32 0
		.amdhsa_float_round_mode_16_64 0
		.amdhsa_float_denorm_mode_32 3
		.amdhsa_float_denorm_mode_16_64 3
		.amdhsa_dx10_clamp 1
		.amdhsa_ieee_mode 1
		.amdhsa_fp16_overflow 0
		.amdhsa_exception_fp_ieee_invalid_op 0
		.amdhsa_exception_fp_denorm_src 0
		.amdhsa_exception_fp_ieee_div_zero 0
		.amdhsa_exception_fp_ieee_overflow 0
		.amdhsa_exception_fp_ieee_underflow 0
		.amdhsa_exception_fp_ieee_inexact 0
		.amdhsa_exception_int_div_zero 0
	.end_amdhsa_kernel
	.section	.text._ZN2at6native12_GLOBAL__N_128upsample_nearest1d_out_frameIhXadL_ZNS0_43nearest_neighbor_exact_compute_source_indexEfiiEEEEvPKT_mmmmPS3_f,"axG",@progbits,_ZN2at6native12_GLOBAL__N_128upsample_nearest1d_out_frameIhXadL_ZNS0_43nearest_neighbor_exact_compute_source_indexEfiiEEEEvPKT_mmmmPS3_f,comdat
.Lfunc_end9:
	.size	_ZN2at6native12_GLOBAL__N_128upsample_nearest1d_out_frameIhXadL_ZNS0_43nearest_neighbor_exact_compute_source_indexEfiiEEEEvPKT_mmmmPS3_f, .Lfunc_end9-_ZN2at6native12_GLOBAL__N_128upsample_nearest1d_out_frameIhXadL_ZNS0_43nearest_neighbor_exact_compute_source_indexEfiiEEEEvPKT_mmmmPS3_f
                                        ; -- End function
	.set _ZN2at6native12_GLOBAL__N_128upsample_nearest1d_out_frameIhXadL_ZNS0_43nearest_neighbor_exact_compute_source_indexEfiiEEEEvPKT_mmmmPS3_f.num_vgpr, 11
	.set _ZN2at6native12_GLOBAL__N_128upsample_nearest1d_out_frameIhXadL_ZNS0_43nearest_neighbor_exact_compute_source_indexEfiiEEEEvPKT_mmmmPS3_f.num_agpr, 0
	.set _ZN2at6native12_GLOBAL__N_128upsample_nearest1d_out_frameIhXadL_ZNS0_43nearest_neighbor_exact_compute_source_indexEfiiEEEEvPKT_mmmmPS3_f.numbered_sgpr, 27
	.set _ZN2at6native12_GLOBAL__N_128upsample_nearest1d_out_frameIhXadL_ZNS0_43nearest_neighbor_exact_compute_source_indexEfiiEEEEvPKT_mmmmPS3_f.num_named_barrier, 0
	.set _ZN2at6native12_GLOBAL__N_128upsample_nearest1d_out_frameIhXadL_ZNS0_43nearest_neighbor_exact_compute_source_indexEfiiEEEEvPKT_mmmmPS3_f.private_seg_size, 0
	.set _ZN2at6native12_GLOBAL__N_128upsample_nearest1d_out_frameIhXadL_ZNS0_43nearest_neighbor_exact_compute_source_indexEfiiEEEEvPKT_mmmmPS3_f.uses_vcc, 1
	.set _ZN2at6native12_GLOBAL__N_128upsample_nearest1d_out_frameIhXadL_ZNS0_43nearest_neighbor_exact_compute_source_indexEfiiEEEEvPKT_mmmmPS3_f.uses_flat_scratch, 0
	.set _ZN2at6native12_GLOBAL__N_128upsample_nearest1d_out_frameIhXadL_ZNS0_43nearest_neighbor_exact_compute_source_indexEfiiEEEEvPKT_mmmmPS3_f.has_dyn_sized_stack, 0
	.set _ZN2at6native12_GLOBAL__N_128upsample_nearest1d_out_frameIhXadL_ZNS0_43nearest_neighbor_exact_compute_source_indexEfiiEEEEvPKT_mmmmPS3_f.has_recursion, 0
	.set _ZN2at6native12_GLOBAL__N_128upsample_nearest1d_out_frameIhXadL_ZNS0_43nearest_neighbor_exact_compute_source_indexEfiiEEEEvPKT_mmmmPS3_f.has_indirect_call, 0
	.section	.AMDGPU.csdata,"",@progbits
; Kernel info:
; codeLenInByte = 1592
; TotalNumSgprs: 31
; NumVgprs: 11
; ScratchSize: 0
; MemoryBound: 0
; FloatMode: 240
; IeeeMode: 1
; LDSByteSize: 0 bytes/workgroup (compile time only)
; SGPRBlocks: 3
; VGPRBlocks: 2
; NumSGPRsForWavesPerEU: 31
; NumVGPRsForWavesPerEU: 11
; Occupancy: 10
; WaveLimiterHint : 0
; COMPUTE_PGM_RSRC2:SCRATCH_EN: 0
; COMPUTE_PGM_RSRC2:USER_SGPR: 6
; COMPUTE_PGM_RSRC2:TRAP_HANDLER: 0
; COMPUTE_PGM_RSRC2:TGID_X_EN: 1
; COMPUTE_PGM_RSRC2:TGID_Y_EN: 0
; COMPUTE_PGM_RSRC2:TGID_Z_EN: 0
; COMPUTE_PGM_RSRC2:TIDIG_COMP_CNT: 0
	.section	.text._ZN2at6native12_GLOBAL__N_137upsample_nearest1d_backward_out_frameIddXadL_ZNS0_40nearest_neighbor_bw_compute_source_indexEfiiEEEEvPKT_mmmmPS3_f,"axG",@progbits,_ZN2at6native12_GLOBAL__N_137upsample_nearest1d_backward_out_frameIddXadL_ZNS0_40nearest_neighbor_bw_compute_source_indexEfiiEEEEvPKT_mmmmPS3_f,comdat
	.globl	_ZN2at6native12_GLOBAL__N_137upsample_nearest1d_backward_out_frameIddXadL_ZNS0_40nearest_neighbor_bw_compute_source_indexEfiiEEEEvPKT_mmmmPS3_f ; -- Begin function _ZN2at6native12_GLOBAL__N_137upsample_nearest1d_backward_out_frameIddXadL_ZNS0_40nearest_neighbor_bw_compute_source_indexEfiiEEEEvPKT_mmmmPS3_f
	.p2align	8
	.type	_ZN2at6native12_GLOBAL__N_137upsample_nearest1d_backward_out_frameIddXadL_ZNS0_40nearest_neighbor_bw_compute_source_indexEfiiEEEEvPKT_mmmmPS3_f,@function
_ZN2at6native12_GLOBAL__N_137upsample_nearest1d_backward_out_frameIddXadL_ZNS0_40nearest_neighbor_bw_compute_source_indexEfiiEEEEvPKT_mmmmPS3_f: ; @_ZN2at6native12_GLOBAL__N_137upsample_nearest1d_backward_out_frameIddXadL_ZNS0_40nearest_neighbor_bw_compute_source_indexEfiiEEEEvPKT_mmmmPS3_f
; %bb.0:
	s_load_dword s0, s[4:5], 0x44
	s_load_dwordx4 s[16:19], s[4:5], 0x20
	s_load_dwordx8 s[8:15], s[4:5], 0x0
	s_waitcnt lgkmcnt(0)
	s_and_b32 s0, s0, 0xffff
	s_mul_i32 s6, s6, s0
	s_mul_i32 s0, s16, s13
	s_mul_hi_u32 s1, s16, s12
	v_add_u32_e32 v0, s6, v0
	s_add_i32 s0, s1, s0
	s_mul_i32 s1, s17, s12
	v_ashrrev_i32_e32 v1, 31, v0
	s_add_i32 s3, s0, s1
	s_mul_i32 s2, s16, s12
	v_cmp_gt_u64_e32 vcc, s[2:3], v[0:1]
	s_and_saveexec_b64 s[0:1], vcc
	s_cbranch_execz .LBB10_16
; %bb.1:
	v_or_b32_e32 v3, s17, v1
	v_mov_b32_e32 v2, 0
	v_cmp_ne_u64_e32 vcc, 0, v[2:3]
                                        ; implicit-def: $vgpr2_vgpr3
	s_and_saveexec_b64 s[0:1], vcc
	s_xor_b64 s[6:7], exec, s[0:1]
	s_cbranch_execz .LBB10_3
; %bb.2:
	v_cvt_f32_u32_e32 v2, s16
	v_cvt_f32_u32_e32 v3, s17
	s_sub_u32 s3, 0, s16
	s_subb_u32 s15, 0, s17
	v_madmk_f32 v2, v3, 0x4f800000, v2
	v_rcp_f32_e32 v2, v2
	v_mul_f32_e32 v2, 0x5f7ffffc, v2
	v_mul_f32_e32 v3, 0x2f800000, v2
	v_trunc_f32_e32 v3, v3
	v_madmk_f32 v2, v3, 0xcf800000, v2
	v_cvt_u32_f32_e32 v3, v3
	v_cvt_u32_f32_e32 v2, v2
	v_readfirstlane_b32 s20, v3
	v_readfirstlane_b32 s0, v2
	s_mul_i32 s1, s3, s20
	s_mul_hi_u32 s22, s3, s0
	s_mul_i32 s21, s15, s0
	s_add_i32 s1, s22, s1
	s_mul_i32 s23, s3, s0
	s_add_i32 s1, s1, s21
	s_mul_i32 s22, s0, s1
	s_mul_hi_u32 s24, s0, s23
	s_mul_hi_u32 s21, s0, s1
	s_add_u32 s22, s24, s22
	s_addc_u32 s21, 0, s21
	s_mul_hi_u32 s25, s20, s23
	s_mul_i32 s23, s20, s23
	s_add_u32 s22, s22, s23
	s_mul_hi_u32 s24, s20, s1
	s_addc_u32 s21, s21, s25
	s_addc_u32 s22, s24, 0
	s_mul_i32 s1, s20, s1
	s_add_u32 s1, s21, s1
	s_addc_u32 s21, 0, s22
	s_add_u32 s22, s0, s1
	s_cselect_b64 s[0:1], -1, 0
	s_cmp_lg_u64 s[0:1], 0
	s_addc_u32 s20, s20, s21
	s_mul_i32 s0, s3, s20
	s_mul_hi_u32 s1, s3, s22
	s_add_i32 s0, s1, s0
	s_mul_i32 s15, s15, s22
	s_add_i32 s0, s0, s15
	s_mul_i32 s3, s3, s22
	s_mul_hi_u32 s15, s20, s3
	s_mul_i32 s21, s20, s3
	s_mul_i32 s24, s22, s0
	s_mul_hi_u32 s3, s22, s3
	s_mul_hi_u32 s23, s22, s0
	s_add_u32 s3, s3, s24
	s_addc_u32 s23, 0, s23
	s_add_u32 s3, s3, s21
	s_mul_hi_u32 s1, s20, s0
	s_addc_u32 s3, s23, s15
	s_addc_u32 s1, s1, 0
	s_mul_i32 s0, s20, s0
	s_add_u32 s0, s3, s0
	s_addc_u32 s3, 0, s1
	s_add_u32 s15, s22, s0
	s_cselect_b64 s[0:1], -1, 0
	s_cmp_lg_u64 s[0:1], 0
	s_addc_u32 s3, s20, s3
	v_mad_u64_u32 v[2:3], s[0:1], v0, s3, 0
	v_mul_hi_u32 v4, v0, s15
	v_add_co_u32_e32 v6, vcc, v4, v2
	v_addc_co_u32_e32 v7, vcc, 0, v3, vcc
	v_mad_u64_u32 v[2:3], s[0:1], v1, s15, 0
	v_mad_u64_u32 v[4:5], s[0:1], v1, s3, 0
	v_add_co_u32_e32 v2, vcc, v6, v2
	v_addc_co_u32_e32 v2, vcc, v7, v3, vcc
	v_addc_co_u32_e32 v3, vcc, 0, v5, vcc
	v_add_co_u32_e32 v4, vcc, v2, v4
	v_addc_co_u32_e32 v5, vcc, 0, v3, vcc
	v_mul_lo_u32 v6, s17, v4
	v_mul_lo_u32 v7, s16, v5
	v_mad_u64_u32 v[2:3], s[0:1], s16, v4, 0
	v_add3_u32 v3, v3, v7, v6
	v_sub_u32_e32 v6, v1, v3
	v_mov_b32_e32 v7, s17
	v_sub_co_u32_e32 v2, vcc, v0, v2
	v_subb_co_u32_e64 v6, s[0:1], v6, v7, vcc
	v_subrev_co_u32_e64 v7, s[0:1], s16, v2
	v_subbrev_co_u32_e64 v6, s[0:1], 0, v6, s[0:1]
	v_cmp_le_u32_e64 s[0:1], s17, v6
	v_cndmask_b32_e64 v8, 0, -1, s[0:1]
	v_cmp_le_u32_e64 s[0:1], s16, v7
	v_cndmask_b32_e64 v7, 0, -1, s[0:1]
	v_cmp_eq_u32_e64 s[0:1], s17, v6
	v_cndmask_b32_e64 v6, v8, v7, s[0:1]
	v_add_co_u32_e64 v7, s[0:1], 2, v4
	v_subb_co_u32_e32 v1, vcc, v1, v3, vcc
	v_addc_co_u32_e64 v8, s[0:1], 0, v5, s[0:1]
	v_cmp_le_u32_e32 vcc, s17, v1
	v_add_co_u32_e64 v9, s[0:1], 1, v4
	v_cndmask_b32_e64 v3, 0, -1, vcc
	v_cmp_le_u32_e32 vcc, s16, v2
	v_addc_co_u32_e64 v10, s[0:1], 0, v5, s[0:1]
	v_cndmask_b32_e64 v2, 0, -1, vcc
	v_cmp_eq_u32_e32 vcc, s17, v1
	v_cmp_ne_u32_e64 s[0:1], 0, v6
	v_cndmask_b32_e32 v1, v3, v2, vcc
	v_cndmask_b32_e64 v6, v10, v8, s[0:1]
	v_cmp_ne_u32_e32 vcc, 0, v1
	v_cndmask_b32_e64 v1, v9, v7, s[0:1]
	v_cndmask_b32_e32 v3, v5, v6, vcc
	v_cndmask_b32_e32 v2, v4, v1, vcc
.LBB10_3:
	s_andn2_saveexec_b64 s[0:1], s[6:7]
	s_cbranch_execz .LBB10_5
; %bb.4:
	v_cvt_f32_u32_e32 v1, s16
	s_sub_i32 s3, 0, s16
	v_rcp_iflag_f32_e32 v1, v1
	v_mul_f32_e32 v1, 0x4f7ffffe, v1
	v_cvt_u32_f32_e32 v1, v1
	v_mul_lo_u32 v2, s3, v1
	v_mul_hi_u32 v2, v1, v2
	v_add_u32_e32 v1, v1, v2
	v_mul_hi_u32 v1, v0, v1
	v_mul_lo_u32 v2, v1, s16
	v_add_u32_e32 v3, 1, v1
	v_sub_u32_e32 v2, v0, v2
	v_subrev_u32_e32 v4, s16, v2
	v_cmp_le_u32_e32 vcc, s16, v2
	v_cndmask_b32_e32 v2, v2, v4, vcc
	v_cndmask_b32_e32 v1, v1, v3, vcc
	v_add_u32_e32 v3, 1, v1
	v_cmp_le_u32_e32 vcc, s16, v2
	v_cndmask_b32_e32 v2, v1, v3, vcc
	v_mov_b32_e32 v3, 0
.LBB10_5:
	s_or_b64 exec, exec, s[0:1]
	v_or_b32_e32 v5, s13, v3
	v_mov_b32_e32 v4, 0
	v_cmp_ne_u64_e32 vcc, 0, v[4:5]
                                        ; implicit-def: $vgpr4_vgpr5
	s_and_saveexec_b64 s[0:1], vcc
	s_xor_b64 s[6:7], exec, s[0:1]
	s_cbranch_execnz .LBB10_8
; %bb.6:
	s_andn2_saveexec_b64 s[0:1], s[6:7]
	s_cbranch_execnz .LBB10_9
.LBB10_7:
	s_or_b64 exec, exec, s[0:1]
	s_cmp_eq_u64 s[10:11], 0
	s_mov_b64 s[6:7], 0
	s_cbranch_scc0 .LBB10_10
	s_branch .LBB10_16
.LBB10_8:
	v_cvt_f32_u32_e32 v1, s12
	v_cvt_f32_u32_e32 v4, s13
	s_sub_u32 s3, 0, s12
	s_subb_u32 s15, 0, s13
	v_madmk_f32 v1, v4, 0x4f800000, v1
	v_rcp_f32_e32 v1, v1
	v_mul_f32_e32 v1, 0x5f7ffffc, v1
	v_mul_f32_e32 v4, 0x2f800000, v1
	v_trunc_f32_e32 v4, v4
	v_madmk_f32 v1, v4, 0xcf800000, v1
	v_cvt_u32_f32_e32 v4, v4
	v_cvt_u32_f32_e32 v1, v1
	v_readfirstlane_b32 s17, v4
	v_readfirstlane_b32 s0, v1
	s_mul_i32 s1, s3, s17
	s_mul_hi_u32 s21, s3, s0
	s_mul_i32 s20, s15, s0
	s_add_i32 s1, s21, s1
	s_mul_i32 s22, s3, s0
	s_add_i32 s1, s1, s20
	s_mul_i32 s21, s0, s1
	s_mul_hi_u32 s23, s0, s22
	s_mul_hi_u32 s20, s0, s1
	s_add_u32 s21, s23, s21
	s_addc_u32 s20, 0, s20
	s_mul_hi_u32 s24, s17, s22
	s_mul_i32 s22, s17, s22
	s_add_u32 s21, s21, s22
	s_mul_hi_u32 s23, s17, s1
	s_addc_u32 s20, s20, s24
	s_addc_u32 s21, s23, 0
	s_mul_i32 s1, s17, s1
	s_add_u32 s1, s20, s1
	s_addc_u32 s20, 0, s21
	s_add_u32 s21, s0, s1
	s_cselect_b64 s[0:1], -1, 0
	s_cmp_lg_u64 s[0:1], 0
	s_addc_u32 s17, s17, s20
	s_mul_i32 s0, s3, s17
	s_mul_hi_u32 s1, s3, s21
	s_add_i32 s0, s1, s0
	s_mul_i32 s15, s15, s21
	s_add_i32 s0, s0, s15
	s_mul_i32 s3, s3, s21
	s_mul_hi_u32 s15, s17, s3
	s_mul_i32 s20, s17, s3
	s_mul_i32 s23, s21, s0
	s_mul_hi_u32 s3, s21, s3
	s_mul_hi_u32 s22, s21, s0
	s_add_u32 s3, s3, s23
	s_addc_u32 s22, 0, s22
	s_add_u32 s3, s3, s20
	s_mul_hi_u32 s1, s17, s0
	s_addc_u32 s3, s22, s15
	s_addc_u32 s1, s1, 0
	s_mul_i32 s0, s17, s0
	s_add_u32 s0, s3, s0
	s_addc_u32 s3, 0, s1
	s_add_u32 s15, s21, s0
	s_cselect_b64 s[0:1], -1, 0
	s_cmp_lg_u64 s[0:1], 0
	s_addc_u32 s3, s17, s3
	v_mad_u64_u32 v[4:5], s[0:1], v2, s3, 0
	v_mul_hi_u32 v1, v2, s15
	v_mad_u64_u32 v[6:7], s[0:1], v3, s3, 0
	v_add_co_u32_e32 v1, vcc, v1, v4
	v_addc_co_u32_e32 v8, vcc, 0, v5, vcc
	v_mad_u64_u32 v[4:5], s[0:1], v3, s15, 0
	v_add_co_u32_e32 v1, vcc, v1, v4
	v_addc_co_u32_e32 v1, vcc, v8, v5, vcc
	v_addc_co_u32_e32 v4, vcc, 0, v7, vcc
	v_add_co_u32_e32 v1, vcc, v1, v6
	v_addc_co_u32_e32 v4, vcc, 0, v4, vcc
	v_mul_lo_u32 v6, s13, v1
	v_mul_lo_u32 v7, s12, v4
	v_mad_u64_u32 v[4:5], s[0:1], s12, v1, 0
	v_add3_u32 v1, v5, v7, v6
	v_sub_u32_e32 v5, v3, v1
	v_mov_b32_e32 v6, s13
	v_sub_co_u32_e32 v4, vcc, v2, v4
	v_subb_co_u32_e64 v5, s[0:1], v5, v6, vcc
	v_subrev_co_u32_e64 v6, s[0:1], s12, v4
	v_subbrev_co_u32_e64 v5, s[0:1], 0, v5, s[0:1]
	v_cmp_le_u32_e64 s[0:1], s13, v5
	v_subb_co_u32_e32 v1, vcc, v3, v1, vcc
	v_cndmask_b32_e64 v7, 0, -1, s[0:1]
	v_cmp_le_u32_e64 s[0:1], s12, v6
	v_cmp_le_u32_e32 vcc, s13, v1
	v_cndmask_b32_e64 v8, 0, -1, s[0:1]
	v_cmp_eq_u32_e64 s[0:1], s13, v5
	v_cndmask_b32_e64 v3, 0, -1, vcc
	v_cmp_le_u32_e32 vcc, s12, v4
	v_cndmask_b32_e64 v5, v7, v8, s[0:1]
	v_cndmask_b32_e64 v8, 0, -1, vcc
	v_cmp_eq_u32_e32 vcc, s13, v1
	v_subrev_co_u32_e64 v7, s[0:1], s12, v6
	v_cndmask_b32_e32 v1, v3, v8, vcc
	v_cmp_ne_u32_e32 vcc, 0, v5
	v_cndmask_b32_e32 v3, v6, v7, vcc
	v_cmp_ne_u32_e32 vcc, 0, v1
	v_cndmask_b32_e32 v4, v4, v3, vcc
	s_andn2_saveexec_b64 s[0:1], s[6:7]
	s_cbranch_execz .LBB10_7
.LBB10_9:
	v_cvt_f32_u32_e32 v1, s12
	s_sub_i32 s3, 0, s12
	v_rcp_iflag_f32_e32 v1, v1
	v_mul_f32_e32 v1, 0x4f7ffffe, v1
	v_cvt_u32_f32_e32 v1, v1
	v_mul_lo_u32 v3, s3, v1
	v_mul_hi_u32 v3, v1, v3
	v_add_u32_e32 v1, v1, v3
	v_mul_hi_u32 v1, v2, v1
	v_mul_lo_u32 v1, v1, s12
	v_sub_u32_e32 v1, v2, v1
	v_subrev_u32_e32 v3, s12, v1
	v_cmp_le_u32_e32 vcc, s12, v1
	v_cndmask_b32_e32 v1, v1, v3, vcc
	v_subrev_u32_e32 v3, s12, v1
	v_cmp_le_u32_e32 vcc, s12, v1
	v_cndmask_b32_e32 v4, v1, v3, vcc
	s_or_b64 exec, exec, s[0:1]
	s_cmp_eq_u64 s[10:11], 0
	s_mov_b64 s[6:7], 0
	s_cbranch_scc1 .LBB10_16
.LBB10_10:
	v_mul_lo_u32 v1, v2, s16
	s_load_dword s0, s[4:5], 0x30
	v_mov_b32_e32 v9, s19
	v_sub_u32_e32 v1, v0, v1
	v_cvt_f32_i32_e32 v2, v1
	v_add_u32_e32 v1, 1, v1
	v_cvt_f32_i32_e32 v1, v1
	s_waitcnt lgkmcnt(0)
	v_mul_f32_e32 v2, s0, v2
	v_ceil_f32_e32 v2, v2
	v_mul_f32_e32 v1, s0, v1
	v_ceil_f32_e32 v1, v1
	v_cvt_i32_f32_e32 v1, v1
	v_cvt_i32_f32_e32 v5, v2
	v_min_i32_e32 v3, s14, v1
	v_min_i32_e32 v2, s14, v5
	v_cmp_gt_i32_e64 s[0:1], v3, v5
	s_branch .LBB10_12
.LBB10_11:                              ;   in Loop: Header=BB10_12 Depth=1
	s_or_b64 exec, exec, s[4:5]
	v_ashrrev_i32_e32 v1, 31, v0
	v_lshlrev_b64 v[7:8], 3, v[0:1]
	s_add_u32 s6, s6, 1
	v_add_co_u32_e32 v7, vcc, s18, v7
	v_addc_co_u32_e32 v8, vcc, v9, v8, vcc
	global_store_dwordx2 v[7:8], v[5:6], off
	s_addc_u32 s7, s7, 0
	v_mov_b32_e32 v5, s6
	v_mov_b32_e32 v6, s7
	v_cmp_le_u64_e32 vcc, s[10:11], v[5:6]
	v_add_u32_e32 v0, s2, v0
	s_cbranch_vccnz .LBB10_16
.LBB10_12:                              ; =>This Loop Header: Depth=1
                                        ;     Child Loop BB10_14 Depth 2
	v_mov_b32_e32 v5, 0
	v_mov_b32_e32 v6, 0
	s_and_saveexec_b64 s[4:5], s[0:1]
	s_cbranch_execz .LBB10_11
; %bb.13:                               ;   in Loop: Header=BB10_12 Depth=1
	s_mul_i32 s3, s6, s12
	v_add_u32_e32 v1, s3, v4
	v_mad_u64_u32 v[7:8], s[16:17], v1, s14, v[2:3]
	v_mov_b32_e32 v5, 0
	v_mov_b32_e32 v6, 0
	s_mov_b64 s[16:17], 0
	v_mov_b32_e32 v1, v2
.LBB10_14:                              ;   Parent Loop BB10_12 Depth=1
                                        ; =>  This Inner Loop Header: Depth=2
	v_ashrrev_i32_e32 v8, 31, v7
	v_lshlrev_b64 v[10:11], 3, v[7:8]
	v_mov_b32_e32 v12, s9
	v_add_co_u32_e32 v10, vcc, s8, v10
	v_addc_co_u32_e32 v11, vcc, v12, v11, vcc
	global_load_dwordx2 v[10:11], v[10:11], off
	v_add_u32_e32 v1, 1, v1
	v_cmp_ge_i32_e32 vcc, v1, v3
	v_add_u32_e32 v7, 1, v7
	s_or_b64 s[16:17], vcc, s[16:17]
	s_waitcnt vmcnt(0)
	v_add_f64 v[5:6], v[5:6], v[10:11]
	s_andn2_b64 exec, exec, s[16:17]
	s_cbranch_execnz .LBB10_14
; %bb.15:                               ;   in Loop: Header=BB10_12 Depth=1
	s_or_b64 exec, exec, s[16:17]
	s_branch .LBB10_11
.LBB10_16:
	s_endpgm
	.section	.rodata,"a",@progbits
	.p2align	6, 0x0
	.amdhsa_kernel _ZN2at6native12_GLOBAL__N_137upsample_nearest1d_backward_out_frameIddXadL_ZNS0_40nearest_neighbor_bw_compute_source_indexEfiiEEEEvPKT_mmmmPS3_f
		.amdhsa_group_segment_fixed_size 0
		.amdhsa_private_segment_fixed_size 0
		.amdhsa_kernarg_size 312
		.amdhsa_user_sgpr_count 6
		.amdhsa_user_sgpr_private_segment_buffer 1
		.amdhsa_user_sgpr_dispatch_ptr 0
		.amdhsa_user_sgpr_queue_ptr 0
		.amdhsa_user_sgpr_kernarg_segment_ptr 1
		.amdhsa_user_sgpr_dispatch_id 0
		.amdhsa_user_sgpr_flat_scratch_init 0
		.amdhsa_user_sgpr_private_segment_size 0
		.amdhsa_uses_dynamic_stack 0
		.amdhsa_system_sgpr_private_segment_wavefront_offset 0
		.amdhsa_system_sgpr_workgroup_id_x 1
		.amdhsa_system_sgpr_workgroup_id_y 0
		.amdhsa_system_sgpr_workgroup_id_z 0
		.amdhsa_system_sgpr_workgroup_info 0
		.amdhsa_system_vgpr_workitem_id 0
		.amdhsa_next_free_vgpr 13
		.amdhsa_next_free_sgpr 26
		.amdhsa_reserve_vcc 1
		.amdhsa_reserve_flat_scratch 0
		.amdhsa_float_round_mode_32 0
		.amdhsa_float_round_mode_16_64 0
		.amdhsa_float_denorm_mode_32 3
		.amdhsa_float_denorm_mode_16_64 3
		.amdhsa_dx10_clamp 1
		.amdhsa_ieee_mode 1
		.amdhsa_fp16_overflow 0
		.amdhsa_exception_fp_ieee_invalid_op 0
		.amdhsa_exception_fp_denorm_src 0
		.amdhsa_exception_fp_ieee_div_zero 0
		.amdhsa_exception_fp_ieee_overflow 0
		.amdhsa_exception_fp_ieee_underflow 0
		.amdhsa_exception_fp_ieee_inexact 0
		.amdhsa_exception_int_div_zero 0
	.end_amdhsa_kernel
	.section	.text._ZN2at6native12_GLOBAL__N_137upsample_nearest1d_backward_out_frameIddXadL_ZNS0_40nearest_neighbor_bw_compute_source_indexEfiiEEEEvPKT_mmmmPS3_f,"axG",@progbits,_ZN2at6native12_GLOBAL__N_137upsample_nearest1d_backward_out_frameIddXadL_ZNS0_40nearest_neighbor_bw_compute_source_indexEfiiEEEEvPKT_mmmmPS3_f,comdat
.Lfunc_end10:
	.size	_ZN2at6native12_GLOBAL__N_137upsample_nearest1d_backward_out_frameIddXadL_ZNS0_40nearest_neighbor_bw_compute_source_indexEfiiEEEEvPKT_mmmmPS3_f, .Lfunc_end10-_ZN2at6native12_GLOBAL__N_137upsample_nearest1d_backward_out_frameIddXadL_ZNS0_40nearest_neighbor_bw_compute_source_indexEfiiEEEEvPKT_mmmmPS3_f
                                        ; -- End function
	.set _ZN2at6native12_GLOBAL__N_137upsample_nearest1d_backward_out_frameIddXadL_ZNS0_40nearest_neighbor_bw_compute_source_indexEfiiEEEEvPKT_mmmmPS3_f.num_vgpr, 13
	.set _ZN2at6native12_GLOBAL__N_137upsample_nearest1d_backward_out_frameIddXadL_ZNS0_40nearest_neighbor_bw_compute_source_indexEfiiEEEEvPKT_mmmmPS3_f.num_agpr, 0
	.set _ZN2at6native12_GLOBAL__N_137upsample_nearest1d_backward_out_frameIddXadL_ZNS0_40nearest_neighbor_bw_compute_source_indexEfiiEEEEvPKT_mmmmPS3_f.numbered_sgpr, 26
	.set _ZN2at6native12_GLOBAL__N_137upsample_nearest1d_backward_out_frameIddXadL_ZNS0_40nearest_neighbor_bw_compute_source_indexEfiiEEEEvPKT_mmmmPS3_f.num_named_barrier, 0
	.set _ZN2at6native12_GLOBAL__N_137upsample_nearest1d_backward_out_frameIddXadL_ZNS0_40nearest_neighbor_bw_compute_source_indexEfiiEEEEvPKT_mmmmPS3_f.private_seg_size, 0
	.set _ZN2at6native12_GLOBAL__N_137upsample_nearest1d_backward_out_frameIddXadL_ZNS0_40nearest_neighbor_bw_compute_source_indexEfiiEEEEvPKT_mmmmPS3_f.uses_vcc, 1
	.set _ZN2at6native12_GLOBAL__N_137upsample_nearest1d_backward_out_frameIddXadL_ZNS0_40nearest_neighbor_bw_compute_source_indexEfiiEEEEvPKT_mmmmPS3_f.uses_flat_scratch, 0
	.set _ZN2at6native12_GLOBAL__N_137upsample_nearest1d_backward_out_frameIddXadL_ZNS0_40nearest_neighbor_bw_compute_source_indexEfiiEEEEvPKT_mmmmPS3_f.has_dyn_sized_stack, 0
	.set _ZN2at6native12_GLOBAL__N_137upsample_nearest1d_backward_out_frameIddXadL_ZNS0_40nearest_neighbor_bw_compute_source_indexEfiiEEEEvPKT_mmmmPS3_f.has_recursion, 0
	.set _ZN2at6native12_GLOBAL__N_137upsample_nearest1d_backward_out_frameIddXadL_ZNS0_40nearest_neighbor_bw_compute_source_indexEfiiEEEEvPKT_mmmmPS3_f.has_indirect_call, 0
	.section	.AMDGPU.csdata,"",@progbits
; Kernel info:
; codeLenInByte = 1716
; TotalNumSgprs: 30
; NumVgprs: 13
; ScratchSize: 0
; MemoryBound: 0
; FloatMode: 240
; IeeeMode: 1
; LDSByteSize: 0 bytes/workgroup (compile time only)
; SGPRBlocks: 3
; VGPRBlocks: 3
; NumSGPRsForWavesPerEU: 30
; NumVGPRsForWavesPerEU: 13
; Occupancy: 10
; WaveLimiterHint : 0
; COMPUTE_PGM_RSRC2:SCRATCH_EN: 0
; COMPUTE_PGM_RSRC2:USER_SGPR: 6
; COMPUTE_PGM_RSRC2:TRAP_HANDLER: 0
; COMPUTE_PGM_RSRC2:TGID_X_EN: 1
; COMPUTE_PGM_RSRC2:TGID_Y_EN: 0
; COMPUTE_PGM_RSRC2:TGID_Z_EN: 0
; COMPUTE_PGM_RSRC2:TIDIG_COMP_CNT: 0
	.section	.text._ZN2at6native12_GLOBAL__N_137upsample_nearest1d_backward_out_frameIffXadL_ZNS0_40nearest_neighbor_bw_compute_source_indexEfiiEEEEvPKT_mmmmPS3_f,"axG",@progbits,_ZN2at6native12_GLOBAL__N_137upsample_nearest1d_backward_out_frameIffXadL_ZNS0_40nearest_neighbor_bw_compute_source_indexEfiiEEEEvPKT_mmmmPS3_f,comdat
	.globl	_ZN2at6native12_GLOBAL__N_137upsample_nearest1d_backward_out_frameIffXadL_ZNS0_40nearest_neighbor_bw_compute_source_indexEfiiEEEEvPKT_mmmmPS3_f ; -- Begin function _ZN2at6native12_GLOBAL__N_137upsample_nearest1d_backward_out_frameIffXadL_ZNS0_40nearest_neighbor_bw_compute_source_indexEfiiEEEEvPKT_mmmmPS3_f
	.p2align	8
	.type	_ZN2at6native12_GLOBAL__N_137upsample_nearest1d_backward_out_frameIffXadL_ZNS0_40nearest_neighbor_bw_compute_source_indexEfiiEEEEvPKT_mmmmPS3_f,@function
_ZN2at6native12_GLOBAL__N_137upsample_nearest1d_backward_out_frameIffXadL_ZNS0_40nearest_neighbor_bw_compute_source_indexEfiiEEEEvPKT_mmmmPS3_f: ; @_ZN2at6native12_GLOBAL__N_137upsample_nearest1d_backward_out_frameIffXadL_ZNS0_40nearest_neighbor_bw_compute_source_indexEfiiEEEEvPKT_mmmmPS3_f
; %bb.0:
	s_load_dword s0, s[4:5], 0x44
	s_load_dwordx4 s[16:19], s[4:5], 0x20
	s_load_dwordx8 s[8:15], s[4:5], 0x0
	s_waitcnt lgkmcnt(0)
	s_and_b32 s0, s0, 0xffff
	s_mul_i32 s6, s6, s0
	s_mul_i32 s0, s16, s13
	s_mul_hi_u32 s1, s16, s12
	v_add_u32_e32 v0, s6, v0
	s_add_i32 s0, s1, s0
	s_mul_i32 s1, s17, s12
	v_ashrrev_i32_e32 v1, 31, v0
	s_add_i32 s3, s0, s1
	s_mul_i32 s2, s16, s12
	v_cmp_gt_u64_e32 vcc, s[2:3], v[0:1]
	s_and_saveexec_b64 s[0:1], vcc
	s_cbranch_execz .LBB11_16
; %bb.1:
	v_or_b32_e32 v3, s17, v1
	v_mov_b32_e32 v2, 0
	v_cmp_ne_u64_e32 vcc, 0, v[2:3]
                                        ; implicit-def: $vgpr2_vgpr3
	s_and_saveexec_b64 s[0:1], vcc
	s_xor_b64 s[6:7], exec, s[0:1]
	s_cbranch_execz .LBB11_3
; %bb.2:
	v_cvt_f32_u32_e32 v2, s16
	v_cvt_f32_u32_e32 v3, s17
	s_sub_u32 s3, 0, s16
	s_subb_u32 s15, 0, s17
	v_madmk_f32 v2, v3, 0x4f800000, v2
	v_rcp_f32_e32 v2, v2
	v_mul_f32_e32 v2, 0x5f7ffffc, v2
	v_mul_f32_e32 v3, 0x2f800000, v2
	v_trunc_f32_e32 v3, v3
	v_madmk_f32 v2, v3, 0xcf800000, v2
	v_cvt_u32_f32_e32 v3, v3
	v_cvt_u32_f32_e32 v2, v2
	v_readfirstlane_b32 s20, v3
	v_readfirstlane_b32 s0, v2
	s_mul_i32 s1, s3, s20
	s_mul_hi_u32 s22, s3, s0
	s_mul_i32 s21, s15, s0
	s_add_i32 s1, s22, s1
	s_mul_i32 s23, s3, s0
	s_add_i32 s1, s1, s21
	s_mul_i32 s22, s0, s1
	s_mul_hi_u32 s24, s0, s23
	s_mul_hi_u32 s21, s0, s1
	s_add_u32 s22, s24, s22
	s_addc_u32 s21, 0, s21
	s_mul_hi_u32 s25, s20, s23
	s_mul_i32 s23, s20, s23
	s_add_u32 s22, s22, s23
	s_mul_hi_u32 s24, s20, s1
	s_addc_u32 s21, s21, s25
	s_addc_u32 s22, s24, 0
	s_mul_i32 s1, s20, s1
	s_add_u32 s1, s21, s1
	s_addc_u32 s21, 0, s22
	s_add_u32 s22, s0, s1
	s_cselect_b64 s[0:1], -1, 0
	s_cmp_lg_u64 s[0:1], 0
	s_addc_u32 s20, s20, s21
	s_mul_i32 s0, s3, s20
	s_mul_hi_u32 s1, s3, s22
	s_add_i32 s0, s1, s0
	s_mul_i32 s15, s15, s22
	s_add_i32 s0, s0, s15
	s_mul_i32 s3, s3, s22
	s_mul_hi_u32 s15, s20, s3
	s_mul_i32 s21, s20, s3
	s_mul_i32 s24, s22, s0
	s_mul_hi_u32 s3, s22, s3
	s_mul_hi_u32 s23, s22, s0
	s_add_u32 s3, s3, s24
	s_addc_u32 s23, 0, s23
	s_add_u32 s3, s3, s21
	s_mul_hi_u32 s1, s20, s0
	s_addc_u32 s3, s23, s15
	s_addc_u32 s1, s1, 0
	s_mul_i32 s0, s20, s0
	s_add_u32 s0, s3, s0
	s_addc_u32 s3, 0, s1
	s_add_u32 s15, s22, s0
	s_cselect_b64 s[0:1], -1, 0
	s_cmp_lg_u64 s[0:1], 0
	s_addc_u32 s3, s20, s3
	v_mad_u64_u32 v[2:3], s[0:1], v0, s3, 0
	v_mul_hi_u32 v4, v0, s15
	v_add_co_u32_e32 v6, vcc, v4, v2
	v_addc_co_u32_e32 v7, vcc, 0, v3, vcc
	v_mad_u64_u32 v[2:3], s[0:1], v1, s15, 0
	v_mad_u64_u32 v[4:5], s[0:1], v1, s3, 0
	v_add_co_u32_e32 v2, vcc, v6, v2
	v_addc_co_u32_e32 v2, vcc, v7, v3, vcc
	v_addc_co_u32_e32 v3, vcc, 0, v5, vcc
	v_add_co_u32_e32 v4, vcc, v2, v4
	v_addc_co_u32_e32 v5, vcc, 0, v3, vcc
	v_mul_lo_u32 v6, s17, v4
	v_mul_lo_u32 v7, s16, v5
	v_mad_u64_u32 v[2:3], s[0:1], s16, v4, 0
	v_add3_u32 v3, v3, v7, v6
	v_sub_u32_e32 v6, v1, v3
	v_mov_b32_e32 v7, s17
	v_sub_co_u32_e32 v2, vcc, v0, v2
	v_subb_co_u32_e64 v6, s[0:1], v6, v7, vcc
	v_subrev_co_u32_e64 v7, s[0:1], s16, v2
	v_subbrev_co_u32_e64 v6, s[0:1], 0, v6, s[0:1]
	v_cmp_le_u32_e64 s[0:1], s17, v6
	v_cndmask_b32_e64 v8, 0, -1, s[0:1]
	v_cmp_le_u32_e64 s[0:1], s16, v7
	v_cndmask_b32_e64 v7, 0, -1, s[0:1]
	v_cmp_eq_u32_e64 s[0:1], s17, v6
	v_cndmask_b32_e64 v6, v8, v7, s[0:1]
	v_add_co_u32_e64 v7, s[0:1], 2, v4
	v_subb_co_u32_e32 v1, vcc, v1, v3, vcc
	v_addc_co_u32_e64 v8, s[0:1], 0, v5, s[0:1]
	v_cmp_le_u32_e32 vcc, s17, v1
	v_add_co_u32_e64 v9, s[0:1], 1, v4
	v_cndmask_b32_e64 v3, 0, -1, vcc
	v_cmp_le_u32_e32 vcc, s16, v2
	v_addc_co_u32_e64 v10, s[0:1], 0, v5, s[0:1]
	v_cndmask_b32_e64 v2, 0, -1, vcc
	v_cmp_eq_u32_e32 vcc, s17, v1
	v_cmp_ne_u32_e64 s[0:1], 0, v6
	v_cndmask_b32_e32 v1, v3, v2, vcc
	v_cndmask_b32_e64 v6, v10, v8, s[0:1]
	v_cmp_ne_u32_e32 vcc, 0, v1
	v_cndmask_b32_e64 v1, v9, v7, s[0:1]
	v_cndmask_b32_e32 v3, v5, v6, vcc
	v_cndmask_b32_e32 v2, v4, v1, vcc
.LBB11_3:
	s_andn2_saveexec_b64 s[0:1], s[6:7]
	s_cbranch_execz .LBB11_5
; %bb.4:
	v_cvt_f32_u32_e32 v1, s16
	s_sub_i32 s3, 0, s16
	v_rcp_iflag_f32_e32 v1, v1
	v_mul_f32_e32 v1, 0x4f7ffffe, v1
	v_cvt_u32_f32_e32 v1, v1
	v_mul_lo_u32 v2, s3, v1
	v_mul_hi_u32 v2, v1, v2
	v_add_u32_e32 v1, v1, v2
	v_mul_hi_u32 v1, v0, v1
	v_mul_lo_u32 v2, v1, s16
	v_add_u32_e32 v3, 1, v1
	v_sub_u32_e32 v2, v0, v2
	v_subrev_u32_e32 v4, s16, v2
	v_cmp_le_u32_e32 vcc, s16, v2
	v_cndmask_b32_e32 v2, v2, v4, vcc
	v_cndmask_b32_e32 v1, v1, v3, vcc
	v_add_u32_e32 v3, 1, v1
	v_cmp_le_u32_e32 vcc, s16, v2
	v_cndmask_b32_e32 v2, v1, v3, vcc
	v_mov_b32_e32 v3, 0
.LBB11_5:
	s_or_b64 exec, exec, s[0:1]
	v_or_b32_e32 v5, s13, v3
	v_mov_b32_e32 v4, 0
	v_cmp_ne_u64_e32 vcc, 0, v[4:5]
                                        ; implicit-def: $vgpr4_vgpr5
	s_and_saveexec_b64 s[0:1], vcc
	s_xor_b64 s[6:7], exec, s[0:1]
	s_cbranch_execnz .LBB11_8
; %bb.6:
	s_andn2_saveexec_b64 s[0:1], s[6:7]
	s_cbranch_execnz .LBB11_9
.LBB11_7:
	s_or_b64 exec, exec, s[0:1]
	s_cmp_eq_u64 s[10:11], 0
	s_mov_b64 s[6:7], 0
	s_cbranch_scc0 .LBB11_10
	s_branch .LBB11_16
.LBB11_8:
	v_cvt_f32_u32_e32 v1, s12
	v_cvt_f32_u32_e32 v4, s13
	s_sub_u32 s3, 0, s12
	s_subb_u32 s15, 0, s13
	v_madmk_f32 v1, v4, 0x4f800000, v1
	v_rcp_f32_e32 v1, v1
	v_mul_f32_e32 v1, 0x5f7ffffc, v1
	v_mul_f32_e32 v4, 0x2f800000, v1
	v_trunc_f32_e32 v4, v4
	v_madmk_f32 v1, v4, 0xcf800000, v1
	v_cvt_u32_f32_e32 v4, v4
	v_cvt_u32_f32_e32 v1, v1
	v_readfirstlane_b32 s17, v4
	v_readfirstlane_b32 s0, v1
	s_mul_i32 s1, s3, s17
	s_mul_hi_u32 s21, s3, s0
	s_mul_i32 s20, s15, s0
	s_add_i32 s1, s21, s1
	s_mul_i32 s22, s3, s0
	s_add_i32 s1, s1, s20
	s_mul_i32 s21, s0, s1
	s_mul_hi_u32 s23, s0, s22
	s_mul_hi_u32 s20, s0, s1
	s_add_u32 s21, s23, s21
	s_addc_u32 s20, 0, s20
	s_mul_hi_u32 s24, s17, s22
	s_mul_i32 s22, s17, s22
	s_add_u32 s21, s21, s22
	s_mul_hi_u32 s23, s17, s1
	s_addc_u32 s20, s20, s24
	s_addc_u32 s21, s23, 0
	s_mul_i32 s1, s17, s1
	s_add_u32 s1, s20, s1
	s_addc_u32 s20, 0, s21
	s_add_u32 s21, s0, s1
	s_cselect_b64 s[0:1], -1, 0
	s_cmp_lg_u64 s[0:1], 0
	s_addc_u32 s17, s17, s20
	s_mul_i32 s0, s3, s17
	s_mul_hi_u32 s1, s3, s21
	s_add_i32 s0, s1, s0
	s_mul_i32 s15, s15, s21
	s_add_i32 s0, s0, s15
	s_mul_i32 s3, s3, s21
	s_mul_hi_u32 s15, s17, s3
	s_mul_i32 s20, s17, s3
	s_mul_i32 s23, s21, s0
	s_mul_hi_u32 s3, s21, s3
	s_mul_hi_u32 s22, s21, s0
	s_add_u32 s3, s3, s23
	s_addc_u32 s22, 0, s22
	s_add_u32 s3, s3, s20
	s_mul_hi_u32 s1, s17, s0
	s_addc_u32 s3, s22, s15
	s_addc_u32 s1, s1, 0
	s_mul_i32 s0, s17, s0
	s_add_u32 s0, s3, s0
	s_addc_u32 s3, 0, s1
	s_add_u32 s15, s21, s0
	s_cselect_b64 s[0:1], -1, 0
	s_cmp_lg_u64 s[0:1], 0
	s_addc_u32 s3, s17, s3
	v_mad_u64_u32 v[4:5], s[0:1], v2, s3, 0
	v_mul_hi_u32 v1, v2, s15
	v_mad_u64_u32 v[6:7], s[0:1], v3, s3, 0
	v_add_co_u32_e32 v1, vcc, v1, v4
	v_addc_co_u32_e32 v8, vcc, 0, v5, vcc
	v_mad_u64_u32 v[4:5], s[0:1], v3, s15, 0
	v_add_co_u32_e32 v1, vcc, v1, v4
	v_addc_co_u32_e32 v1, vcc, v8, v5, vcc
	v_addc_co_u32_e32 v4, vcc, 0, v7, vcc
	v_add_co_u32_e32 v1, vcc, v1, v6
	v_addc_co_u32_e32 v4, vcc, 0, v4, vcc
	v_mul_lo_u32 v6, s13, v1
	v_mul_lo_u32 v7, s12, v4
	v_mad_u64_u32 v[4:5], s[0:1], s12, v1, 0
	v_add3_u32 v1, v5, v7, v6
	v_sub_u32_e32 v5, v3, v1
	v_mov_b32_e32 v6, s13
	v_sub_co_u32_e32 v4, vcc, v2, v4
	v_subb_co_u32_e64 v5, s[0:1], v5, v6, vcc
	v_subrev_co_u32_e64 v6, s[0:1], s12, v4
	v_subbrev_co_u32_e64 v5, s[0:1], 0, v5, s[0:1]
	v_cmp_le_u32_e64 s[0:1], s13, v5
	v_subb_co_u32_e32 v1, vcc, v3, v1, vcc
	v_cndmask_b32_e64 v7, 0, -1, s[0:1]
	v_cmp_le_u32_e64 s[0:1], s12, v6
	v_cmp_le_u32_e32 vcc, s13, v1
	v_cndmask_b32_e64 v8, 0, -1, s[0:1]
	v_cmp_eq_u32_e64 s[0:1], s13, v5
	v_cndmask_b32_e64 v3, 0, -1, vcc
	v_cmp_le_u32_e32 vcc, s12, v4
	v_cndmask_b32_e64 v5, v7, v8, s[0:1]
	v_cndmask_b32_e64 v8, 0, -1, vcc
	v_cmp_eq_u32_e32 vcc, s13, v1
	v_subrev_co_u32_e64 v7, s[0:1], s12, v6
	v_cndmask_b32_e32 v1, v3, v8, vcc
	v_cmp_ne_u32_e32 vcc, 0, v5
	v_cndmask_b32_e32 v3, v6, v7, vcc
	v_cmp_ne_u32_e32 vcc, 0, v1
	v_cndmask_b32_e32 v4, v4, v3, vcc
	s_andn2_saveexec_b64 s[0:1], s[6:7]
	s_cbranch_execz .LBB11_7
.LBB11_9:
	v_cvt_f32_u32_e32 v1, s12
	s_sub_i32 s3, 0, s12
	v_rcp_iflag_f32_e32 v1, v1
	v_mul_f32_e32 v1, 0x4f7ffffe, v1
	v_cvt_u32_f32_e32 v1, v1
	v_mul_lo_u32 v3, s3, v1
	v_mul_hi_u32 v3, v1, v3
	v_add_u32_e32 v1, v1, v3
	v_mul_hi_u32 v1, v2, v1
	v_mul_lo_u32 v1, v1, s12
	v_sub_u32_e32 v1, v2, v1
	v_subrev_u32_e32 v3, s12, v1
	v_cmp_le_u32_e32 vcc, s12, v1
	v_cndmask_b32_e32 v1, v1, v3, vcc
	v_subrev_u32_e32 v3, s12, v1
	v_cmp_le_u32_e32 vcc, s12, v1
	v_cndmask_b32_e32 v4, v1, v3, vcc
	s_or_b64 exec, exec, s[0:1]
	s_cmp_eq_u64 s[10:11], 0
	s_mov_b64 s[6:7], 0
	s_cbranch_scc1 .LBB11_16
.LBB11_10:
	v_mul_lo_u32 v1, v2, s16
	s_load_dword s0, s[4:5], 0x30
	v_mov_b32_e32 v7, s19
	v_sub_u32_e32 v1, v0, v1
	v_cvt_f32_i32_e32 v2, v1
	v_add_u32_e32 v1, 1, v1
	v_cvt_f32_i32_e32 v1, v1
	s_waitcnt lgkmcnt(0)
	v_mul_f32_e32 v2, s0, v2
	v_ceil_f32_e32 v2, v2
	v_mul_f32_e32 v1, s0, v1
	v_ceil_f32_e32 v1, v1
	v_cvt_i32_f32_e32 v1, v1
	v_cvt_i32_f32_e32 v5, v2
	v_min_i32_e32 v3, s14, v1
	v_min_i32_e32 v2, s14, v5
	v_cmp_gt_i32_e64 s[0:1], v3, v5
	s_branch .LBB11_12
.LBB11_11:                              ;   in Loop: Header=BB11_12 Depth=1
	s_or_b64 exec, exec, s[4:5]
	v_ashrrev_i32_e32 v1, 31, v0
	v_lshlrev_b64 v[5:6], 2, v[0:1]
	s_add_u32 s6, s6, 1
	v_add_co_u32_e32 v5, vcc, s18, v5
	v_addc_co_u32_e32 v6, vcc, v7, v6, vcc
	global_store_dword v[5:6], v8, off
	s_addc_u32 s7, s7, 0
	v_mov_b32_e32 v5, s6
	v_mov_b32_e32 v6, s7
	v_cmp_le_u64_e32 vcc, s[10:11], v[5:6]
	v_add_u32_e32 v0, s2, v0
	s_cbranch_vccnz .LBB11_16
.LBB11_12:                              ; =>This Loop Header: Depth=1
                                        ;     Child Loop BB11_14 Depth 2
	v_mov_b32_e32 v8, 0
	s_and_saveexec_b64 s[4:5], s[0:1]
	s_cbranch_execz .LBB11_11
; %bb.13:                               ;   in Loop: Header=BB11_12 Depth=1
	s_mul_i32 s3, s6, s12
	v_add_u32_e32 v1, s3, v4
	v_mad_u64_u32 v[5:6], s[16:17], v1, s14, v[2:3]
	v_mov_b32_e32 v8, 0
	s_mov_b64 s[16:17], 0
	v_mov_b32_e32 v1, v2
.LBB11_14:                              ;   Parent Loop BB11_12 Depth=1
                                        ; =>  This Inner Loop Header: Depth=2
	v_ashrrev_i32_e32 v6, 31, v5
	v_lshlrev_b64 v[9:10], 2, v[5:6]
	v_mov_b32_e32 v11, s9
	v_add_co_u32_e32 v9, vcc, s8, v9
	v_addc_co_u32_e32 v10, vcc, v11, v10, vcc
	global_load_dword v6, v[9:10], off
	v_add_u32_e32 v1, 1, v1
	v_cmp_ge_i32_e32 vcc, v1, v3
	v_add_u32_e32 v5, 1, v5
	s_or_b64 s[16:17], vcc, s[16:17]
	s_waitcnt vmcnt(0)
	v_add_f32_e32 v8, v8, v6
	s_andn2_b64 exec, exec, s[16:17]
	s_cbranch_execnz .LBB11_14
; %bb.15:                               ;   in Loop: Header=BB11_12 Depth=1
	s_or_b64 exec, exec, s[16:17]
	s_branch .LBB11_11
.LBB11_16:
	s_endpgm
	.section	.rodata,"a",@progbits
	.p2align	6, 0x0
	.amdhsa_kernel _ZN2at6native12_GLOBAL__N_137upsample_nearest1d_backward_out_frameIffXadL_ZNS0_40nearest_neighbor_bw_compute_source_indexEfiiEEEEvPKT_mmmmPS3_f
		.amdhsa_group_segment_fixed_size 0
		.amdhsa_private_segment_fixed_size 0
		.amdhsa_kernarg_size 312
		.amdhsa_user_sgpr_count 6
		.amdhsa_user_sgpr_private_segment_buffer 1
		.amdhsa_user_sgpr_dispatch_ptr 0
		.amdhsa_user_sgpr_queue_ptr 0
		.amdhsa_user_sgpr_kernarg_segment_ptr 1
		.amdhsa_user_sgpr_dispatch_id 0
		.amdhsa_user_sgpr_flat_scratch_init 0
		.amdhsa_user_sgpr_private_segment_size 0
		.amdhsa_uses_dynamic_stack 0
		.amdhsa_system_sgpr_private_segment_wavefront_offset 0
		.amdhsa_system_sgpr_workgroup_id_x 1
		.amdhsa_system_sgpr_workgroup_id_y 0
		.amdhsa_system_sgpr_workgroup_id_z 0
		.amdhsa_system_sgpr_workgroup_info 0
		.amdhsa_system_vgpr_workitem_id 0
		.amdhsa_next_free_vgpr 12
		.amdhsa_next_free_sgpr 26
		.amdhsa_reserve_vcc 1
		.amdhsa_reserve_flat_scratch 0
		.amdhsa_float_round_mode_32 0
		.amdhsa_float_round_mode_16_64 0
		.amdhsa_float_denorm_mode_32 3
		.amdhsa_float_denorm_mode_16_64 3
		.amdhsa_dx10_clamp 1
		.amdhsa_ieee_mode 1
		.amdhsa_fp16_overflow 0
		.amdhsa_exception_fp_ieee_invalid_op 0
		.amdhsa_exception_fp_denorm_src 0
		.amdhsa_exception_fp_ieee_div_zero 0
		.amdhsa_exception_fp_ieee_overflow 0
		.amdhsa_exception_fp_ieee_underflow 0
		.amdhsa_exception_fp_ieee_inexact 0
		.amdhsa_exception_int_div_zero 0
	.end_amdhsa_kernel
	.section	.text._ZN2at6native12_GLOBAL__N_137upsample_nearest1d_backward_out_frameIffXadL_ZNS0_40nearest_neighbor_bw_compute_source_indexEfiiEEEEvPKT_mmmmPS3_f,"axG",@progbits,_ZN2at6native12_GLOBAL__N_137upsample_nearest1d_backward_out_frameIffXadL_ZNS0_40nearest_neighbor_bw_compute_source_indexEfiiEEEEvPKT_mmmmPS3_f,comdat
.Lfunc_end11:
	.size	_ZN2at6native12_GLOBAL__N_137upsample_nearest1d_backward_out_frameIffXadL_ZNS0_40nearest_neighbor_bw_compute_source_indexEfiiEEEEvPKT_mmmmPS3_f, .Lfunc_end11-_ZN2at6native12_GLOBAL__N_137upsample_nearest1d_backward_out_frameIffXadL_ZNS0_40nearest_neighbor_bw_compute_source_indexEfiiEEEEvPKT_mmmmPS3_f
                                        ; -- End function
	.set _ZN2at6native12_GLOBAL__N_137upsample_nearest1d_backward_out_frameIffXadL_ZNS0_40nearest_neighbor_bw_compute_source_indexEfiiEEEEvPKT_mmmmPS3_f.num_vgpr, 12
	.set _ZN2at6native12_GLOBAL__N_137upsample_nearest1d_backward_out_frameIffXadL_ZNS0_40nearest_neighbor_bw_compute_source_indexEfiiEEEEvPKT_mmmmPS3_f.num_agpr, 0
	.set _ZN2at6native12_GLOBAL__N_137upsample_nearest1d_backward_out_frameIffXadL_ZNS0_40nearest_neighbor_bw_compute_source_indexEfiiEEEEvPKT_mmmmPS3_f.numbered_sgpr, 26
	.set _ZN2at6native12_GLOBAL__N_137upsample_nearest1d_backward_out_frameIffXadL_ZNS0_40nearest_neighbor_bw_compute_source_indexEfiiEEEEvPKT_mmmmPS3_f.num_named_barrier, 0
	.set _ZN2at6native12_GLOBAL__N_137upsample_nearest1d_backward_out_frameIffXadL_ZNS0_40nearest_neighbor_bw_compute_source_indexEfiiEEEEvPKT_mmmmPS3_f.private_seg_size, 0
	.set _ZN2at6native12_GLOBAL__N_137upsample_nearest1d_backward_out_frameIffXadL_ZNS0_40nearest_neighbor_bw_compute_source_indexEfiiEEEEvPKT_mmmmPS3_f.uses_vcc, 1
	.set _ZN2at6native12_GLOBAL__N_137upsample_nearest1d_backward_out_frameIffXadL_ZNS0_40nearest_neighbor_bw_compute_source_indexEfiiEEEEvPKT_mmmmPS3_f.uses_flat_scratch, 0
	.set _ZN2at6native12_GLOBAL__N_137upsample_nearest1d_backward_out_frameIffXadL_ZNS0_40nearest_neighbor_bw_compute_source_indexEfiiEEEEvPKT_mmmmPS3_f.has_dyn_sized_stack, 0
	.set _ZN2at6native12_GLOBAL__N_137upsample_nearest1d_backward_out_frameIffXadL_ZNS0_40nearest_neighbor_bw_compute_source_indexEfiiEEEEvPKT_mmmmPS3_f.has_recursion, 0
	.set _ZN2at6native12_GLOBAL__N_137upsample_nearest1d_backward_out_frameIffXadL_ZNS0_40nearest_neighbor_bw_compute_source_indexEfiiEEEEvPKT_mmmmPS3_f.has_indirect_call, 0
	.section	.AMDGPU.csdata,"",@progbits
; Kernel info:
; codeLenInByte = 1704
; TotalNumSgprs: 30
; NumVgprs: 12
; ScratchSize: 0
; MemoryBound: 0
; FloatMode: 240
; IeeeMode: 1
; LDSByteSize: 0 bytes/workgroup (compile time only)
; SGPRBlocks: 3
; VGPRBlocks: 2
; NumSGPRsForWavesPerEU: 30
; NumVGPRsForWavesPerEU: 12
; Occupancy: 10
; WaveLimiterHint : 0
; COMPUTE_PGM_RSRC2:SCRATCH_EN: 0
; COMPUTE_PGM_RSRC2:USER_SGPR: 6
; COMPUTE_PGM_RSRC2:TRAP_HANDLER: 0
; COMPUTE_PGM_RSRC2:TGID_X_EN: 1
; COMPUTE_PGM_RSRC2:TGID_Y_EN: 0
; COMPUTE_PGM_RSRC2:TGID_Z_EN: 0
; COMPUTE_PGM_RSRC2:TIDIG_COMP_CNT: 0
	.section	.text._ZN2at6native12_GLOBAL__N_137upsample_nearest1d_backward_out_frameIN3c104HalfEfXadL_ZNS0_40nearest_neighbor_bw_compute_source_indexEfiiEEEEvPKT_mmmmPS5_f,"axG",@progbits,_ZN2at6native12_GLOBAL__N_137upsample_nearest1d_backward_out_frameIN3c104HalfEfXadL_ZNS0_40nearest_neighbor_bw_compute_source_indexEfiiEEEEvPKT_mmmmPS5_f,comdat
	.globl	_ZN2at6native12_GLOBAL__N_137upsample_nearest1d_backward_out_frameIN3c104HalfEfXadL_ZNS0_40nearest_neighbor_bw_compute_source_indexEfiiEEEEvPKT_mmmmPS5_f ; -- Begin function _ZN2at6native12_GLOBAL__N_137upsample_nearest1d_backward_out_frameIN3c104HalfEfXadL_ZNS0_40nearest_neighbor_bw_compute_source_indexEfiiEEEEvPKT_mmmmPS5_f
	.p2align	8
	.type	_ZN2at6native12_GLOBAL__N_137upsample_nearest1d_backward_out_frameIN3c104HalfEfXadL_ZNS0_40nearest_neighbor_bw_compute_source_indexEfiiEEEEvPKT_mmmmPS5_f,@function
_ZN2at6native12_GLOBAL__N_137upsample_nearest1d_backward_out_frameIN3c104HalfEfXadL_ZNS0_40nearest_neighbor_bw_compute_source_indexEfiiEEEEvPKT_mmmmPS5_f: ; @_ZN2at6native12_GLOBAL__N_137upsample_nearest1d_backward_out_frameIN3c104HalfEfXadL_ZNS0_40nearest_neighbor_bw_compute_source_indexEfiiEEEEvPKT_mmmmPS5_f
; %bb.0:
	s_load_dword s0, s[4:5], 0x44
	s_load_dwordx4 s[16:19], s[4:5], 0x20
	s_load_dwordx8 s[8:15], s[4:5], 0x0
	s_waitcnt lgkmcnt(0)
	s_and_b32 s0, s0, 0xffff
	s_mul_i32 s6, s6, s0
	s_mul_i32 s0, s16, s13
	s_mul_hi_u32 s1, s16, s12
	v_add_u32_e32 v0, s6, v0
	s_add_i32 s0, s1, s0
	s_mul_i32 s1, s17, s12
	v_ashrrev_i32_e32 v1, 31, v0
	s_add_i32 s3, s0, s1
	s_mul_i32 s2, s16, s12
	v_cmp_gt_u64_e32 vcc, s[2:3], v[0:1]
	s_and_saveexec_b64 s[0:1], vcc
	s_cbranch_execz .LBB12_16
; %bb.1:
	v_or_b32_e32 v3, s17, v1
	v_mov_b32_e32 v2, 0
	v_cmp_ne_u64_e32 vcc, 0, v[2:3]
                                        ; implicit-def: $vgpr2_vgpr3
	s_and_saveexec_b64 s[0:1], vcc
	s_xor_b64 s[6:7], exec, s[0:1]
	s_cbranch_execz .LBB12_3
; %bb.2:
	v_cvt_f32_u32_e32 v2, s16
	v_cvt_f32_u32_e32 v3, s17
	s_sub_u32 s3, 0, s16
	s_subb_u32 s15, 0, s17
	v_madmk_f32 v2, v3, 0x4f800000, v2
	v_rcp_f32_e32 v2, v2
	v_mul_f32_e32 v2, 0x5f7ffffc, v2
	v_mul_f32_e32 v3, 0x2f800000, v2
	v_trunc_f32_e32 v3, v3
	v_madmk_f32 v2, v3, 0xcf800000, v2
	v_cvt_u32_f32_e32 v3, v3
	v_cvt_u32_f32_e32 v2, v2
	v_readfirstlane_b32 s20, v3
	v_readfirstlane_b32 s0, v2
	s_mul_i32 s1, s3, s20
	s_mul_hi_u32 s22, s3, s0
	s_mul_i32 s21, s15, s0
	s_add_i32 s1, s22, s1
	s_mul_i32 s23, s3, s0
	s_add_i32 s1, s1, s21
	s_mul_i32 s22, s0, s1
	s_mul_hi_u32 s24, s0, s23
	s_mul_hi_u32 s21, s0, s1
	s_add_u32 s22, s24, s22
	s_addc_u32 s21, 0, s21
	s_mul_hi_u32 s25, s20, s23
	s_mul_i32 s23, s20, s23
	s_add_u32 s22, s22, s23
	s_mul_hi_u32 s24, s20, s1
	s_addc_u32 s21, s21, s25
	s_addc_u32 s22, s24, 0
	s_mul_i32 s1, s20, s1
	s_add_u32 s1, s21, s1
	s_addc_u32 s21, 0, s22
	s_add_u32 s22, s0, s1
	s_cselect_b64 s[0:1], -1, 0
	s_cmp_lg_u64 s[0:1], 0
	s_addc_u32 s20, s20, s21
	s_mul_i32 s0, s3, s20
	s_mul_hi_u32 s1, s3, s22
	s_add_i32 s0, s1, s0
	s_mul_i32 s15, s15, s22
	s_add_i32 s0, s0, s15
	s_mul_i32 s3, s3, s22
	s_mul_hi_u32 s15, s20, s3
	s_mul_i32 s21, s20, s3
	s_mul_i32 s24, s22, s0
	s_mul_hi_u32 s3, s22, s3
	s_mul_hi_u32 s23, s22, s0
	s_add_u32 s3, s3, s24
	s_addc_u32 s23, 0, s23
	s_add_u32 s3, s3, s21
	s_mul_hi_u32 s1, s20, s0
	s_addc_u32 s3, s23, s15
	s_addc_u32 s1, s1, 0
	s_mul_i32 s0, s20, s0
	s_add_u32 s0, s3, s0
	s_addc_u32 s3, 0, s1
	s_add_u32 s15, s22, s0
	s_cselect_b64 s[0:1], -1, 0
	s_cmp_lg_u64 s[0:1], 0
	s_addc_u32 s3, s20, s3
	v_mad_u64_u32 v[2:3], s[0:1], v0, s3, 0
	v_mul_hi_u32 v4, v0, s15
	v_add_co_u32_e32 v6, vcc, v4, v2
	v_addc_co_u32_e32 v7, vcc, 0, v3, vcc
	v_mad_u64_u32 v[2:3], s[0:1], v1, s15, 0
	v_mad_u64_u32 v[4:5], s[0:1], v1, s3, 0
	v_add_co_u32_e32 v2, vcc, v6, v2
	v_addc_co_u32_e32 v2, vcc, v7, v3, vcc
	v_addc_co_u32_e32 v3, vcc, 0, v5, vcc
	v_add_co_u32_e32 v4, vcc, v2, v4
	v_addc_co_u32_e32 v5, vcc, 0, v3, vcc
	v_mul_lo_u32 v6, s17, v4
	v_mul_lo_u32 v7, s16, v5
	v_mad_u64_u32 v[2:3], s[0:1], s16, v4, 0
	v_add3_u32 v3, v3, v7, v6
	v_sub_u32_e32 v6, v1, v3
	v_mov_b32_e32 v7, s17
	v_sub_co_u32_e32 v2, vcc, v0, v2
	v_subb_co_u32_e64 v6, s[0:1], v6, v7, vcc
	v_subrev_co_u32_e64 v7, s[0:1], s16, v2
	v_subbrev_co_u32_e64 v6, s[0:1], 0, v6, s[0:1]
	v_cmp_le_u32_e64 s[0:1], s17, v6
	v_cndmask_b32_e64 v8, 0, -1, s[0:1]
	v_cmp_le_u32_e64 s[0:1], s16, v7
	v_cndmask_b32_e64 v7, 0, -1, s[0:1]
	v_cmp_eq_u32_e64 s[0:1], s17, v6
	v_cndmask_b32_e64 v6, v8, v7, s[0:1]
	v_add_co_u32_e64 v7, s[0:1], 2, v4
	v_subb_co_u32_e32 v1, vcc, v1, v3, vcc
	v_addc_co_u32_e64 v8, s[0:1], 0, v5, s[0:1]
	v_cmp_le_u32_e32 vcc, s17, v1
	v_add_co_u32_e64 v9, s[0:1], 1, v4
	v_cndmask_b32_e64 v3, 0, -1, vcc
	v_cmp_le_u32_e32 vcc, s16, v2
	v_addc_co_u32_e64 v10, s[0:1], 0, v5, s[0:1]
	v_cndmask_b32_e64 v2, 0, -1, vcc
	v_cmp_eq_u32_e32 vcc, s17, v1
	v_cmp_ne_u32_e64 s[0:1], 0, v6
	v_cndmask_b32_e32 v1, v3, v2, vcc
	v_cndmask_b32_e64 v6, v10, v8, s[0:1]
	v_cmp_ne_u32_e32 vcc, 0, v1
	v_cndmask_b32_e64 v1, v9, v7, s[0:1]
	v_cndmask_b32_e32 v3, v5, v6, vcc
	v_cndmask_b32_e32 v2, v4, v1, vcc
.LBB12_3:
	s_andn2_saveexec_b64 s[0:1], s[6:7]
	s_cbranch_execz .LBB12_5
; %bb.4:
	v_cvt_f32_u32_e32 v1, s16
	s_sub_i32 s3, 0, s16
	v_rcp_iflag_f32_e32 v1, v1
	v_mul_f32_e32 v1, 0x4f7ffffe, v1
	v_cvt_u32_f32_e32 v1, v1
	v_mul_lo_u32 v2, s3, v1
	v_mul_hi_u32 v2, v1, v2
	v_add_u32_e32 v1, v1, v2
	v_mul_hi_u32 v1, v0, v1
	v_mul_lo_u32 v2, v1, s16
	v_add_u32_e32 v3, 1, v1
	v_sub_u32_e32 v2, v0, v2
	v_subrev_u32_e32 v4, s16, v2
	v_cmp_le_u32_e32 vcc, s16, v2
	v_cndmask_b32_e32 v2, v2, v4, vcc
	v_cndmask_b32_e32 v1, v1, v3, vcc
	v_add_u32_e32 v3, 1, v1
	v_cmp_le_u32_e32 vcc, s16, v2
	v_cndmask_b32_e32 v2, v1, v3, vcc
	v_mov_b32_e32 v3, 0
.LBB12_5:
	s_or_b64 exec, exec, s[0:1]
	v_or_b32_e32 v5, s13, v3
	v_mov_b32_e32 v4, 0
	v_cmp_ne_u64_e32 vcc, 0, v[4:5]
                                        ; implicit-def: $vgpr4_vgpr5
	s_and_saveexec_b64 s[0:1], vcc
	s_xor_b64 s[6:7], exec, s[0:1]
	s_cbranch_execnz .LBB12_8
; %bb.6:
	s_andn2_saveexec_b64 s[0:1], s[6:7]
	s_cbranch_execnz .LBB12_9
.LBB12_7:
	s_or_b64 exec, exec, s[0:1]
	s_cmp_eq_u64 s[10:11], 0
	s_mov_b64 s[6:7], 0
	s_cbranch_scc0 .LBB12_10
	s_branch .LBB12_16
.LBB12_8:
	v_cvt_f32_u32_e32 v1, s12
	v_cvt_f32_u32_e32 v4, s13
	s_sub_u32 s3, 0, s12
	s_subb_u32 s15, 0, s13
	v_madmk_f32 v1, v4, 0x4f800000, v1
	v_rcp_f32_e32 v1, v1
	v_mul_f32_e32 v1, 0x5f7ffffc, v1
	v_mul_f32_e32 v4, 0x2f800000, v1
	v_trunc_f32_e32 v4, v4
	v_madmk_f32 v1, v4, 0xcf800000, v1
	v_cvt_u32_f32_e32 v4, v4
	v_cvt_u32_f32_e32 v1, v1
	v_readfirstlane_b32 s17, v4
	v_readfirstlane_b32 s0, v1
	s_mul_i32 s1, s3, s17
	s_mul_hi_u32 s21, s3, s0
	s_mul_i32 s20, s15, s0
	s_add_i32 s1, s21, s1
	s_mul_i32 s22, s3, s0
	s_add_i32 s1, s1, s20
	s_mul_i32 s21, s0, s1
	s_mul_hi_u32 s23, s0, s22
	s_mul_hi_u32 s20, s0, s1
	s_add_u32 s21, s23, s21
	s_addc_u32 s20, 0, s20
	s_mul_hi_u32 s24, s17, s22
	s_mul_i32 s22, s17, s22
	s_add_u32 s21, s21, s22
	s_mul_hi_u32 s23, s17, s1
	s_addc_u32 s20, s20, s24
	s_addc_u32 s21, s23, 0
	s_mul_i32 s1, s17, s1
	s_add_u32 s1, s20, s1
	s_addc_u32 s20, 0, s21
	s_add_u32 s21, s0, s1
	s_cselect_b64 s[0:1], -1, 0
	s_cmp_lg_u64 s[0:1], 0
	s_addc_u32 s17, s17, s20
	s_mul_i32 s0, s3, s17
	s_mul_hi_u32 s1, s3, s21
	s_add_i32 s0, s1, s0
	s_mul_i32 s15, s15, s21
	s_add_i32 s0, s0, s15
	s_mul_i32 s3, s3, s21
	s_mul_hi_u32 s15, s17, s3
	s_mul_i32 s20, s17, s3
	s_mul_i32 s23, s21, s0
	s_mul_hi_u32 s3, s21, s3
	s_mul_hi_u32 s22, s21, s0
	s_add_u32 s3, s3, s23
	s_addc_u32 s22, 0, s22
	s_add_u32 s3, s3, s20
	s_mul_hi_u32 s1, s17, s0
	s_addc_u32 s3, s22, s15
	s_addc_u32 s1, s1, 0
	s_mul_i32 s0, s17, s0
	s_add_u32 s0, s3, s0
	s_addc_u32 s3, 0, s1
	s_add_u32 s15, s21, s0
	s_cselect_b64 s[0:1], -1, 0
	s_cmp_lg_u64 s[0:1], 0
	s_addc_u32 s3, s17, s3
	v_mad_u64_u32 v[4:5], s[0:1], v2, s3, 0
	v_mul_hi_u32 v1, v2, s15
	v_mad_u64_u32 v[6:7], s[0:1], v3, s3, 0
	v_add_co_u32_e32 v1, vcc, v1, v4
	v_addc_co_u32_e32 v8, vcc, 0, v5, vcc
	v_mad_u64_u32 v[4:5], s[0:1], v3, s15, 0
	v_add_co_u32_e32 v1, vcc, v1, v4
	v_addc_co_u32_e32 v1, vcc, v8, v5, vcc
	v_addc_co_u32_e32 v4, vcc, 0, v7, vcc
	v_add_co_u32_e32 v1, vcc, v1, v6
	v_addc_co_u32_e32 v4, vcc, 0, v4, vcc
	v_mul_lo_u32 v6, s13, v1
	v_mul_lo_u32 v7, s12, v4
	v_mad_u64_u32 v[4:5], s[0:1], s12, v1, 0
	v_add3_u32 v1, v5, v7, v6
	v_sub_u32_e32 v5, v3, v1
	v_mov_b32_e32 v6, s13
	v_sub_co_u32_e32 v4, vcc, v2, v4
	v_subb_co_u32_e64 v5, s[0:1], v5, v6, vcc
	v_subrev_co_u32_e64 v6, s[0:1], s12, v4
	v_subbrev_co_u32_e64 v5, s[0:1], 0, v5, s[0:1]
	v_cmp_le_u32_e64 s[0:1], s13, v5
	v_subb_co_u32_e32 v1, vcc, v3, v1, vcc
	v_cndmask_b32_e64 v7, 0, -1, s[0:1]
	v_cmp_le_u32_e64 s[0:1], s12, v6
	v_cmp_le_u32_e32 vcc, s13, v1
	v_cndmask_b32_e64 v8, 0, -1, s[0:1]
	v_cmp_eq_u32_e64 s[0:1], s13, v5
	v_cndmask_b32_e64 v3, 0, -1, vcc
	v_cmp_le_u32_e32 vcc, s12, v4
	v_cndmask_b32_e64 v5, v7, v8, s[0:1]
	v_cndmask_b32_e64 v8, 0, -1, vcc
	v_cmp_eq_u32_e32 vcc, s13, v1
	v_subrev_co_u32_e64 v7, s[0:1], s12, v6
	v_cndmask_b32_e32 v1, v3, v8, vcc
	v_cmp_ne_u32_e32 vcc, 0, v5
	v_cndmask_b32_e32 v3, v6, v7, vcc
	v_cmp_ne_u32_e32 vcc, 0, v1
	v_cndmask_b32_e32 v4, v4, v3, vcc
	s_andn2_saveexec_b64 s[0:1], s[6:7]
	s_cbranch_execz .LBB12_7
.LBB12_9:
	v_cvt_f32_u32_e32 v1, s12
	s_sub_i32 s3, 0, s12
	v_rcp_iflag_f32_e32 v1, v1
	v_mul_f32_e32 v1, 0x4f7ffffe, v1
	v_cvt_u32_f32_e32 v1, v1
	v_mul_lo_u32 v3, s3, v1
	v_mul_hi_u32 v3, v1, v3
	v_add_u32_e32 v1, v1, v3
	v_mul_hi_u32 v1, v2, v1
	v_mul_lo_u32 v1, v1, s12
	v_sub_u32_e32 v1, v2, v1
	v_subrev_u32_e32 v3, s12, v1
	v_cmp_le_u32_e32 vcc, s12, v1
	v_cndmask_b32_e32 v1, v1, v3, vcc
	v_subrev_u32_e32 v3, s12, v1
	v_cmp_le_u32_e32 vcc, s12, v1
	v_cndmask_b32_e32 v4, v1, v3, vcc
	s_or_b64 exec, exec, s[0:1]
	s_cmp_eq_u64 s[10:11], 0
	s_mov_b64 s[6:7], 0
	s_cbranch_scc1 .LBB12_16
.LBB12_10:
	v_mul_lo_u32 v1, v2, s16
	s_load_dword s0, s[4:5], 0x30
	v_mov_b32_e32 v7, s19
	v_sub_u32_e32 v1, v0, v1
	v_cvt_f32_i32_e32 v2, v1
	v_add_u32_e32 v1, 1, v1
	v_cvt_f32_i32_e32 v1, v1
	s_waitcnt lgkmcnt(0)
	v_mul_f32_e32 v2, s0, v2
	v_ceil_f32_e32 v2, v2
	v_mul_f32_e32 v1, s0, v1
	v_ceil_f32_e32 v1, v1
	v_cvt_i32_f32_e32 v1, v1
	v_cvt_i32_f32_e32 v5, v2
	v_min_i32_e32 v3, s14, v1
	v_min_i32_e32 v2, s14, v5
	v_cmp_gt_i32_e64 s[0:1], v3, v5
	s_branch .LBB12_12
.LBB12_11:                              ;   in Loop: Header=BB12_12 Depth=1
	s_or_b64 exec, exec, s[4:5]
	v_ashrrev_i32_e32 v1, 31, v0
	v_lshlrev_b64 v[8:9], 1, v[0:1]
	s_add_u32 s6, s6, 1
	v_add_co_u32_e32 v8, vcc, s18, v8
	v_addc_co_u32_e32 v9, vcc, v7, v9, vcc
	global_store_short v[8:9], v5, off
	s_addc_u32 s7, s7, 0
	v_mov_b32_e32 v5, s6
	v_mov_b32_e32 v6, s7
	v_cmp_le_u64_e32 vcc, s[10:11], v[5:6]
	v_add_u32_e32 v0, s2, v0
	s_cbranch_vccnz .LBB12_16
.LBB12_12:                              ; =>This Loop Header: Depth=1
                                        ;     Child Loop BB12_14 Depth 2
	v_mov_b32_e32 v5, 0
	s_and_saveexec_b64 s[4:5], s[0:1]
	s_cbranch_execz .LBB12_11
; %bb.13:                               ;   in Loop: Header=BB12_12 Depth=1
	s_mul_i32 s3, s6, s12
	v_add_u32_e32 v1, s3, v4
	v_mad_u64_u32 v[5:6], s[16:17], v1, s14, v[2:3]
	v_mov_b32_e32 v1, 0
	s_mov_b64 s[16:17], 0
	v_mov_b32_e32 v8, v2
.LBB12_14:                              ;   Parent Loop BB12_12 Depth=1
                                        ; =>  This Inner Loop Header: Depth=2
	v_ashrrev_i32_e32 v6, 31, v5
	v_lshlrev_b64 v[9:10], 1, v[5:6]
	v_mov_b32_e32 v11, s9
	v_add_co_u32_e32 v9, vcc, s8, v9
	v_addc_co_u32_e32 v10, vcc, v11, v10, vcc
	global_load_ushort v6, v[9:10], off
	v_add_u32_e32 v8, 1, v8
	v_cmp_ge_i32_e32 vcc, v8, v3
	v_add_u32_e32 v5, 1, v5
	s_or_b64 s[16:17], vcc, s[16:17]
	s_waitcnt vmcnt(0)
	v_cvt_f32_f16_e32 v6, v6
	v_add_f32_e32 v1, v1, v6
	s_andn2_b64 exec, exec, s[16:17]
	s_cbranch_execnz .LBB12_14
; %bb.15:                               ;   in Loop: Header=BB12_12 Depth=1
	s_or_b64 exec, exec, s[16:17]
	v_cvt_f16_f32_e32 v5, v1
	s_branch .LBB12_11
.LBB12_16:
	s_endpgm
	.section	.rodata,"a",@progbits
	.p2align	6, 0x0
	.amdhsa_kernel _ZN2at6native12_GLOBAL__N_137upsample_nearest1d_backward_out_frameIN3c104HalfEfXadL_ZNS0_40nearest_neighbor_bw_compute_source_indexEfiiEEEEvPKT_mmmmPS5_f
		.amdhsa_group_segment_fixed_size 0
		.amdhsa_private_segment_fixed_size 0
		.amdhsa_kernarg_size 312
		.amdhsa_user_sgpr_count 6
		.amdhsa_user_sgpr_private_segment_buffer 1
		.amdhsa_user_sgpr_dispatch_ptr 0
		.amdhsa_user_sgpr_queue_ptr 0
		.amdhsa_user_sgpr_kernarg_segment_ptr 1
		.amdhsa_user_sgpr_dispatch_id 0
		.amdhsa_user_sgpr_flat_scratch_init 0
		.amdhsa_user_sgpr_private_segment_size 0
		.amdhsa_uses_dynamic_stack 0
		.amdhsa_system_sgpr_private_segment_wavefront_offset 0
		.amdhsa_system_sgpr_workgroup_id_x 1
		.amdhsa_system_sgpr_workgroup_id_y 0
		.amdhsa_system_sgpr_workgroup_id_z 0
		.amdhsa_system_sgpr_workgroup_info 0
		.amdhsa_system_vgpr_workitem_id 0
		.amdhsa_next_free_vgpr 12
		.amdhsa_next_free_sgpr 26
		.amdhsa_reserve_vcc 1
		.amdhsa_reserve_flat_scratch 0
		.amdhsa_float_round_mode_32 0
		.amdhsa_float_round_mode_16_64 0
		.amdhsa_float_denorm_mode_32 3
		.amdhsa_float_denorm_mode_16_64 3
		.amdhsa_dx10_clamp 1
		.amdhsa_ieee_mode 1
		.amdhsa_fp16_overflow 0
		.amdhsa_exception_fp_ieee_invalid_op 0
		.amdhsa_exception_fp_denorm_src 0
		.amdhsa_exception_fp_ieee_div_zero 0
		.amdhsa_exception_fp_ieee_overflow 0
		.amdhsa_exception_fp_ieee_underflow 0
		.amdhsa_exception_fp_ieee_inexact 0
		.amdhsa_exception_int_div_zero 0
	.end_amdhsa_kernel
	.section	.text._ZN2at6native12_GLOBAL__N_137upsample_nearest1d_backward_out_frameIN3c104HalfEfXadL_ZNS0_40nearest_neighbor_bw_compute_source_indexEfiiEEEEvPKT_mmmmPS5_f,"axG",@progbits,_ZN2at6native12_GLOBAL__N_137upsample_nearest1d_backward_out_frameIN3c104HalfEfXadL_ZNS0_40nearest_neighbor_bw_compute_source_indexEfiiEEEEvPKT_mmmmPS5_f,comdat
.Lfunc_end12:
	.size	_ZN2at6native12_GLOBAL__N_137upsample_nearest1d_backward_out_frameIN3c104HalfEfXadL_ZNS0_40nearest_neighbor_bw_compute_source_indexEfiiEEEEvPKT_mmmmPS5_f, .Lfunc_end12-_ZN2at6native12_GLOBAL__N_137upsample_nearest1d_backward_out_frameIN3c104HalfEfXadL_ZNS0_40nearest_neighbor_bw_compute_source_indexEfiiEEEEvPKT_mmmmPS5_f
                                        ; -- End function
	.set _ZN2at6native12_GLOBAL__N_137upsample_nearest1d_backward_out_frameIN3c104HalfEfXadL_ZNS0_40nearest_neighbor_bw_compute_source_indexEfiiEEEEvPKT_mmmmPS5_f.num_vgpr, 12
	.set _ZN2at6native12_GLOBAL__N_137upsample_nearest1d_backward_out_frameIN3c104HalfEfXadL_ZNS0_40nearest_neighbor_bw_compute_source_indexEfiiEEEEvPKT_mmmmPS5_f.num_agpr, 0
	.set _ZN2at6native12_GLOBAL__N_137upsample_nearest1d_backward_out_frameIN3c104HalfEfXadL_ZNS0_40nearest_neighbor_bw_compute_source_indexEfiiEEEEvPKT_mmmmPS5_f.numbered_sgpr, 26
	.set _ZN2at6native12_GLOBAL__N_137upsample_nearest1d_backward_out_frameIN3c104HalfEfXadL_ZNS0_40nearest_neighbor_bw_compute_source_indexEfiiEEEEvPKT_mmmmPS5_f.num_named_barrier, 0
	.set _ZN2at6native12_GLOBAL__N_137upsample_nearest1d_backward_out_frameIN3c104HalfEfXadL_ZNS0_40nearest_neighbor_bw_compute_source_indexEfiiEEEEvPKT_mmmmPS5_f.private_seg_size, 0
	.set _ZN2at6native12_GLOBAL__N_137upsample_nearest1d_backward_out_frameIN3c104HalfEfXadL_ZNS0_40nearest_neighbor_bw_compute_source_indexEfiiEEEEvPKT_mmmmPS5_f.uses_vcc, 1
	.set _ZN2at6native12_GLOBAL__N_137upsample_nearest1d_backward_out_frameIN3c104HalfEfXadL_ZNS0_40nearest_neighbor_bw_compute_source_indexEfiiEEEEvPKT_mmmmPS5_f.uses_flat_scratch, 0
	.set _ZN2at6native12_GLOBAL__N_137upsample_nearest1d_backward_out_frameIN3c104HalfEfXadL_ZNS0_40nearest_neighbor_bw_compute_source_indexEfiiEEEEvPKT_mmmmPS5_f.has_dyn_sized_stack, 0
	.set _ZN2at6native12_GLOBAL__N_137upsample_nearest1d_backward_out_frameIN3c104HalfEfXadL_ZNS0_40nearest_neighbor_bw_compute_source_indexEfiiEEEEvPKT_mmmmPS5_f.has_recursion, 0
	.set _ZN2at6native12_GLOBAL__N_137upsample_nearest1d_backward_out_frameIN3c104HalfEfXadL_ZNS0_40nearest_neighbor_bw_compute_source_indexEfiiEEEEvPKT_mmmmPS5_f.has_indirect_call, 0
	.section	.AMDGPU.csdata,"",@progbits
; Kernel info:
; codeLenInByte = 1712
; TotalNumSgprs: 30
; NumVgprs: 12
; ScratchSize: 0
; MemoryBound: 0
; FloatMode: 240
; IeeeMode: 1
; LDSByteSize: 0 bytes/workgroup (compile time only)
; SGPRBlocks: 3
; VGPRBlocks: 2
; NumSGPRsForWavesPerEU: 30
; NumVGPRsForWavesPerEU: 12
; Occupancy: 10
; WaveLimiterHint : 0
; COMPUTE_PGM_RSRC2:SCRATCH_EN: 0
; COMPUTE_PGM_RSRC2:USER_SGPR: 6
; COMPUTE_PGM_RSRC2:TRAP_HANDLER: 0
; COMPUTE_PGM_RSRC2:TGID_X_EN: 1
; COMPUTE_PGM_RSRC2:TGID_Y_EN: 0
; COMPUTE_PGM_RSRC2:TGID_Z_EN: 0
; COMPUTE_PGM_RSRC2:TIDIG_COMP_CNT: 0
	.section	.text._ZN2at6native12_GLOBAL__N_137upsample_nearest1d_backward_out_frameIN3c108BFloat16EfXadL_ZNS0_40nearest_neighbor_bw_compute_source_indexEfiiEEEEvPKT_mmmmPS5_f,"axG",@progbits,_ZN2at6native12_GLOBAL__N_137upsample_nearest1d_backward_out_frameIN3c108BFloat16EfXadL_ZNS0_40nearest_neighbor_bw_compute_source_indexEfiiEEEEvPKT_mmmmPS5_f,comdat
	.globl	_ZN2at6native12_GLOBAL__N_137upsample_nearest1d_backward_out_frameIN3c108BFloat16EfXadL_ZNS0_40nearest_neighbor_bw_compute_source_indexEfiiEEEEvPKT_mmmmPS5_f ; -- Begin function _ZN2at6native12_GLOBAL__N_137upsample_nearest1d_backward_out_frameIN3c108BFloat16EfXadL_ZNS0_40nearest_neighbor_bw_compute_source_indexEfiiEEEEvPKT_mmmmPS5_f
	.p2align	8
	.type	_ZN2at6native12_GLOBAL__N_137upsample_nearest1d_backward_out_frameIN3c108BFloat16EfXadL_ZNS0_40nearest_neighbor_bw_compute_source_indexEfiiEEEEvPKT_mmmmPS5_f,@function
_ZN2at6native12_GLOBAL__N_137upsample_nearest1d_backward_out_frameIN3c108BFloat16EfXadL_ZNS0_40nearest_neighbor_bw_compute_source_indexEfiiEEEEvPKT_mmmmPS5_f: ; @_ZN2at6native12_GLOBAL__N_137upsample_nearest1d_backward_out_frameIN3c108BFloat16EfXadL_ZNS0_40nearest_neighbor_bw_compute_source_indexEfiiEEEEvPKT_mmmmPS5_f
; %bb.0:
	s_load_dword s0, s[4:5], 0x44
	s_load_dwordx4 s[16:19], s[4:5], 0x20
	s_load_dwordx8 s[8:15], s[4:5], 0x0
	s_waitcnt lgkmcnt(0)
	s_and_b32 s0, s0, 0xffff
	s_mul_i32 s6, s6, s0
	s_mul_i32 s0, s16, s13
	s_mul_hi_u32 s1, s16, s12
	v_add_u32_e32 v0, s6, v0
	s_add_i32 s0, s1, s0
	s_mul_i32 s1, s17, s12
	v_ashrrev_i32_e32 v1, 31, v0
	s_add_i32 s3, s0, s1
	s_mul_i32 s2, s16, s12
	v_cmp_gt_u64_e32 vcc, s[2:3], v[0:1]
	s_and_saveexec_b64 s[0:1], vcc
	s_cbranch_execz .LBB13_16
; %bb.1:
	v_or_b32_e32 v3, s17, v1
	v_mov_b32_e32 v2, 0
	v_cmp_ne_u64_e32 vcc, 0, v[2:3]
                                        ; implicit-def: $vgpr2_vgpr3
	s_and_saveexec_b64 s[0:1], vcc
	s_xor_b64 s[6:7], exec, s[0:1]
	s_cbranch_execz .LBB13_3
; %bb.2:
	v_cvt_f32_u32_e32 v2, s16
	v_cvt_f32_u32_e32 v3, s17
	s_sub_u32 s3, 0, s16
	s_subb_u32 s15, 0, s17
	v_madmk_f32 v2, v3, 0x4f800000, v2
	v_rcp_f32_e32 v2, v2
	v_mul_f32_e32 v2, 0x5f7ffffc, v2
	v_mul_f32_e32 v3, 0x2f800000, v2
	v_trunc_f32_e32 v3, v3
	v_madmk_f32 v2, v3, 0xcf800000, v2
	v_cvt_u32_f32_e32 v3, v3
	v_cvt_u32_f32_e32 v2, v2
	v_readfirstlane_b32 s20, v3
	v_readfirstlane_b32 s0, v2
	s_mul_i32 s1, s3, s20
	s_mul_hi_u32 s22, s3, s0
	s_mul_i32 s21, s15, s0
	s_add_i32 s1, s22, s1
	s_mul_i32 s23, s3, s0
	s_add_i32 s1, s1, s21
	s_mul_i32 s22, s0, s1
	s_mul_hi_u32 s24, s0, s23
	s_mul_hi_u32 s21, s0, s1
	s_add_u32 s22, s24, s22
	s_addc_u32 s21, 0, s21
	s_mul_hi_u32 s25, s20, s23
	s_mul_i32 s23, s20, s23
	s_add_u32 s22, s22, s23
	s_mul_hi_u32 s24, s20, s1
	s_addc_u32 s21, s21, s25
	s_addc_u32 s22, s24, 0
	s_mul_i32 s1, s20, s1
	s_add_u32 s1, s21, s1
	s_addc_u32 s21, 0, s22
	s_add_u32 s22, s0, s1
	s_cselect_b64 s[0:1], -1, 0
	s_cmp_lg_u64 s[0:1], 0
	s_addc_u32 s20, s20, s21
	s_mul_i32 s0, s3, s20
	s_mul_hi_u32 s1, s3, s22
	s_add_i32 s0, s1, s0
	s_mul_i32 s15, s15, s22
	s_add_i32 s0, s0, s15
	s_mul_i32 s3, s3, s22
	s_mul_hi_u32 s15, s20, s3
	s_mul_i32 s21, s20, s3
	s_mul_i32 s24, s22, s0
	s_mul_hi_u32 s3, s22, s3
	s_mul_hi_u32 s23, s22, s0
	s_add_u32 s3, s3, s24
	s_addc_u32 s23, 0, s23
	s_add_u32 s3, s3, s21
	s_mul_hi_u32 s1, s20, s0
	s_addc_u32 s3, s23, s15
	s_addc_u32 s1, s1, 0
	s_mul_i32 s0, s20, s0
	s_add_u32 s0, s3, s0
	s_addc_u32 s3, 0, s1
	s_add_u32 s15, s22, s0
	s_cselect_b64 s[0:1], -1, 0
	s_cmp_lg_u64 s[0:1], 0
	s_addc_u32 s3, s20, s3
	v_mad_u64_u32 v[2:3], s[0:1], v0, s3, 0
	v_mul_hi_u32 v4, v0, s15
	v_add_co_u32_e32 v6, vcc, v4, v2
	v_addc_co_u32_e32 v7, vcc, 0, v3, vcc
	v_mad_u64_u32 v[2:3], s[0:1], v1, s15, 0
	v_mad_u64_u32 v[4:5], s[0:1], v1, s3, 0
	v_add_co_u32_e32 v2, vcc, v6, v2
	v_addc_co_u32_e32 v2, vcc, v7, v3, vcc
	v_addc_co_u32_e32 v3, vcc, 0, v5, vcc
	v_add_co_u32_e32 v4, vcc, v2, v4
	v_addc_co_u32_e32 v5, vcc, 0, v3, vcc
	v_mul_lo_u32 v6, s17, v4
	v_mul_lo_u32 v7, s16, v5
	v_mad_u64_u32 v[2:3], s[0:1], s16, v4, 0
	v_add3_u32 v3, v3, v7, v6
	v_sub_u32_e32 v6, v1, v3
	v_mov_b32_e32 v7, s17
	v_sub_co_u32_e32 v2, vcc, v0, v2
	v_subb_co_u32_e64 v6, s[0:1], v6, v7, vcc
	v_subrev_co_u32_e64 v7, s[0:1], s16, v2
	v_subbrev_co_u32_e64 v6, s[0:1], 0, v6, s[0:1]
	v_cmp_le_u32_e64 s[0:1], s17, v6
	v_cndmask_b32_e64 v8, 0, -1, s[0:1]
	v_cmp_le_u32_e64 s[0:1], s16, v7
	v_cndmask_b32_e64 v7, 0, -1, s[0:1]
	v_cmp_eq_u32_e64 s[0:1], s17, v6
	v_cndmask_b32_e64 v6, v8, v7, s[0:1]
	v_add_co_u32_e64 v7, s[0:1], 2, v4
	v_subb_co_u32_e32 v1, vcc, v1, v3, vcc
	v_addc_co_u32_e64 v8, s[0:1], 0, v5, s[0:1]
	v_cmp_le_u32_e32 vcc, s17, v1
	v_add_co_u32_e64 v9, s[0:1], 1, v4
	v_cndmask_b32_e64 v3, 0, -1, vcc
	v_cmp_le_u32_e32 vcc, s16, v2
	v_addc_co_u32_e64 v10, s[0:1], 0, v5, s[0:1]
	v_cndmask_b32_e64 v2, 0, -1, vcc
	v_cmp_eq_u32_e32 vcc, s17, v1
	v_cmp_ne_u32_e64 s[0:1], 0, v6
	v_cndmask_b32_e32 v1, v3, v2, vcc
	v_cndmask_b32_e64 v6, v10, v8, s[0:1]
	v_cmp_ne_u32_e32 vcc, 0, v1
	v_cndmask_b32_e64 v1, v9, v7, s[0:1]
	v_cndmask_b32_e32 v3, v5, v6, vcc
	v_cndmask_b32_e32 v2, v4, v1, vcc
.LBB13_3:
	s_andn2_saveexec_b64 s[0:1], s[6:7]
	s_cbranch_execz .LBB13_5
; %bb.4:
	v_cvt_f32_u32_e32 v1, s16
	s_sub_i32 s3, 0, s16
	v_rcp_iflag_f32_e32 v1, v1
	v_mul_f32_e32 v1, 0x4f7ffffe, v1
	v_cvt_u32_f32_e32 v1, v1
	v_mul_lo_u32 v2, s3, v1
	v_mul_hi_u32 v2, v1, v2
	v_add_u32_e32 v1, v1, v2
	v_mul_hi_u32 v1, v0, v1
	v_mul_lo_u32 v2, v1, s16
	v_add_u32_e32 v3, 1, v1
	v_sub_u32_e32 v2, v0, v2
	v_subrev_u32_e32 v4, s16, v2
	v_cmp_le_u32_e32 vcc, s16, v2
	v_cndmask_b32_e32 v2, v2, v4, vcc
	v_cndmask_b32_e32 v1, v1, v3, vcc
	v_add_u32_e32 v3, 1, v1
	v_cmp_le_u32_e32 vcc, s16, v2
	v_cndmask_b32_e32 v2, v1, v3, vcc
	v_mov_b32_e32 v3, 0
.LBB13_5:
	s_or_b64 exec, exec, s[0:1]
	v_or_b32_e32 v5, s13, v3
	v_mov_b32_e32 v4, 0
	v_cmp_ne_u64_e32 vcc, 0, v[4:5]
                                        ; implicit-def: $vgpr4_vgpr5
	s_and_saveexec_b64 s[0:1], vcc
	s_xor_b64 s[6:7], exec, s[0:1]
	s_cbranch_execnz .LBB13_8
; %bb.6:
	s_andn2_saveexec_b64 s[0:1], s[6:7]
	s_cbranch_execnz .LBB13_9
.LBB13_7:
	s_or_b64 exec, exec, s[0:1]
	s_cmp_eq_u64 s[10:11], 0
	s_mov_b64 s[6:7], 0
	s_cbranch_scc0 .LBB13_10
	s_branch .LBB13_16
.LBB13_8:
	v_cvt_f32_u32_e32 v1, s12
	v_cvt_f32_u32_e32 v4, s13
	s_sub_u32 s3, 0, s12
	s_subb_u32 s15, 0, s13
	v_madmk_f32 v1, v4, 0x4f800000, v1
	v_rcp_f32_e32 v1, v1
	v_mul_f32_e32 v1, 0x5f7ffffc, v1
	v_mul_f32_e32 v4, 0x2f800000, v1
	v_trunc_f32_e32 v4, v4
	v_madmk_f32 v1, v4, 0xcf800000, v1
	v_cvt_u32_f32_e32 v4, v4
	v_cvt_u32_f32_e32 v1, v1
	v_readfirstlane_b32 s17, v4
	v_readfirstlane_b32 s0, v1
	s_mul_i32 s1, s3, s17
	s_mul_hi_u32 s21, s3, s0
	s_mul_i32 s20, s15, s0
	s_add_i32 s1, s21, s1
	s_mul_i32 s22, s3, s0
	s_add_i32 s1, s1, s20
	s_mul_i32 s21, s0, s1
	s_mul_hi_u32 s23, s0, s22
	s_mul_hi_u32 s20, s0, s1
	s_add_u32 s21, s23, s21
	s_addc_u32 s20, 0, s20
	s_mul_hi_u32 s24, s17, s22
	s_mul_i32 s22, s17, s22
	s_add_u32 s21, s21, s22
	s_mul_hi_u32 s23, s17, s1
	s_addc_u32 s20, s20, s24
	s_addc_u32 s21, s23, 0
	s_mul_i32 s1, s17, s1
	s_add_u32 s1, s20, s1
	s_addc_u32 s20, 0, s21
	s_add_u32 s21, s0, s1
	s_cselect_b64 s[0:1], -1, 0
	s_cmp_lg_u64 s[0:1], 0
	s_addc_u32 s17, s17, s20
	s_mul_i32 s0, s3, s17
	s_mul_hi_u32 s1, s3, s21
	s_add_i32 s0, s1, s0
	s_mul_i32 s15, s15, s21
	s_add_i32 s0, s0, s15
	s_mul_i32 s3, s3, s21
	s_mul_hi_u32 s15, s17, s3
	s_mul_i32 s20, s17, s3
	s_mul_i32 s23, s21, s0
	s_mul_hi_u32 s3, s21, s3
	s_mul_hi_u32 s22, s21, s0
	s_add_u32 s3, s3, s23
	s_addc_u32 s22, 0, s22
	s_add_u32 s3, s3, s20
	s_mul_hi_u32 s1, s17, s0
	s_addc_u32 s3, s22, s15
	s_addc_u32 s1, s1, 0
	s_mul_i32 s0, s17, s0
	s_add_u32 s0, s3, s0
	s_addc_u32 s3, 0, s1
	s_add_u32 s15, s21, s0
	s_cselect_b64 s[0:1], -1, 0
	s_cmp_lg_u64 s[0:1], 0
	s_addc_u32 s3, s17, s3
	v_mad_u64_u32 v[4:5], s[0:1], v2, s3, 0
	v_mul_hi_u32 v1, v2, s15
	v_mad_u64_u32 v[6:7], s[0:1], v3, s3, 0
	v_add_co_u32_e32 v1, vcc, v1, v4
	v_addc_co_u32_e32 v8, vcc, 0, v5, vcc
	v_mad_u64_u32 v[4:5], s[0:1], v3, s15, 0
	v_add_co_u32_e32 v1, vcc, v1, v4
	v_addc_co_u32_e32 v1, vcc, v8, v5, vcc
	v_addc_co_u32_e32 v4, vcc, 0, v7, vcc
	v_add_co_u32_e32 v1, vcc, v1, v6
	v_addc_co_u32_e32 v4, vcc, 0, v4, vcc
	v_mul_lo_u32 v6, s13, v1
	v_mul_lo_u32 v7, s12, v4
	v_mad_u64_u32 v[4:5], s[0:1], s12, v1, 0
	v_add3_u32 v1, v5, v7, v6
	v_sub_u32_e32 v5, v3, v1
	v_mov_b32_e32 v6, s13
	v_sub_co_u32_e32 v4, vcc, v2, v4
	v_subb_co_u32_e64 v5, s[0:1], v5, v6, vcc
	v_subrev_co_u32_e64 v6, s[0:1], s12, v4
	v_subbrev_co_u32_e64 v5, s[0:1], 0, v5, s[0:1]
	v_cmp_le_u32_e64 s[0:1], s13, v5
	v_subb_co_u32_e32 v1, vcc, v3, v1, vcc
	v_cndmask_b32_e64 v7, 0, -1, s[0:1]
	v_cmp_le_u32_e64 s[0:1], s12, v6
	v_cmp_le_u32_e32 vcc, s13, v1
	v_cndmask_b32_e64 v8, 0, -1, s[0:1]
	v_cmp_eq_u32_e64 s[0:1], s13, v5
	v_cndmask_b32_e64 v3, 0, -1, vcc
	v_cmp_le_u32_e32 vcc, s12, v4
	v_cndmask_b32_e64 v5, v7, v8, s[0:1]
	v_cndmask_b32_e64 v8, 0, -1, vcc
	v_cmp_eq_u32_e32 vcc, s13, v1
	v_subrev_co_u32_e64 v7, s[0:1], s12, v6
	v_cndmask_b32_e32 v1, v3, v8, vcc
	v_cmp_ne_u32_e32 vcc, 0, v5
	v_cndmask_b32_e32 v3, v6, v7, vcc
	v_cmp_ne_u32_e32 vcc, 0, v1
	v_cndmask_b32_e32 v4, v4, v3, vcc
	s_andn2_saveexec_b64 s[0:1], s[6:7]
	s_cbranch_execz .LBB13_7
.LBB13_9:
	v_cvt_f32_u32_e32 v1, s12
	s_sub_i32 s3, 0, s12
	v_rcp_iflag_f32_e32 v1, v1
	v_mul_f32_e32 v1, 0x4f7ffffe, v1
	v_cvt_u32_f32_e32 v1, v1
	v_mul_lo_u32 v3, s3, v1
	v_mul_hi_u32 v3, v1, v3
	v_add_u32_e32 v1, v1, v3
	v_mul_hi_u32 v1, v2, v1
	v_mul_lo_u32 v1, v1, s12
	v_sub_u32_e32 v1, v2, v1
	v_subrev_u32_e32 v3, s12, v1
	v_cmp_le_u32_e32 vcc, s12, v1
	v_cndmask_b32_e32 v1, v1, v3, vcc
	v_subrev_u32_e32 v3, s12, v1
	v_cmp_le_u32_e32 vcc, s12, v1
	v_cndmask_b32_e32 v4, v1, v3, vcc
	s_or_b64 exec, exec, s[0:1]
	s_cmp_eq_u64 s[10:11], 0
	s_mov_b64 s[6:7], 0
	s_cbranch_scc1 .LBB13_16
.LBB13_10:
	v_mul_lo_u32 v1, v2, s16
	s_load_dword s0, s[4:5], 0x30
	s_movk_i32 s3, 0x7fff
	v_mov_b32_e32 v3, 0x7fc0
	v_sub_u32_e32 v1, v0, v1
	v_cvt_f32_i32_e32 v2, v1
	v_add_u32_e32 v1, 1, v1
	v_cvt_f32_i32_e32 v1, v1
	v_mov_b32_e32 v8, s19
	s_waitcnt lgkmcnt(0)
	v_mul_f32_e32 v2, s0, v2
	v_ceil_f32_e32 v2, v2
	v_mul_f32_e32 v1, s0, v1
	v_ceil_f32_e32 v1, v1
	v_cvt_i32_f32_e32 v1, v1
	v_cvt_i32_f32_e32 v5, v2
	v_min_i32_e32 v7, s14, v1
	v_min_i32_e32 v2, s14, v5
	v_cmp_gt_i32_e64 s[0:1], v7, v5
	s_branch .LBB13_12
.LBB13_11:                              ;   in Loop: Header=BB13_12 Depth=1
	s_or_b64 exec, exec, s[4:5]
	v_bfe_u32 v5, v1, 16, 1
	v_add3_u32 v5, v1, v5, s3
	v_cmp_o_f32_e32 vcc, v1, v1
	v_ashrrev_i32_e32 v1, 31, v0
	v_cndmask_b32_sdwa v9, v3, v5, vcc dst_sel:DWORD dst_unused:UNUSED_PAD src0_sel:DWORD src1_sel:WORD_1
	v_lshlrev_b64 v[5:6], 1, v[0:1]
	s_add_u32 s6, s6, 1
	v_add_co_u32_e32 v5, vcc, s18, v5
	v_addc_co_u32_e32 v6, vcc, v8, v6, vcc
	global_store_short v[5:6], v9, off
	s_addc_u32 s7, s7, 0
	v_mov_b32_e32 v5, s6
	v_mov_b32_e32 v6, s7
	v_cmp_le_u64_e32 vcc, s[10:11], v[5:6]
	v_add_u32_e32 v0, s2, v0
	s_cbranch_vccnz .LBB13_16
.LBB13_12:                              ; =>This Loop Header: Depth=1
                                        ;     Child Loop BB13_14 Depth 2
	v_mov_b32_e32 v1, 0
	s_and_saveexec_b64 s[4:5], s[0:1]
	s_cbranch_execz .LBB13_11
; %bb.13:                               ;   in Loop: Header=BB13_12 Depth=1
	s_mul_i32 s13, s6, s12
	v_add_u32_e32 v1, s13, v4
	v_mad_u64_u32 v[5:6], s[16:17], v1, s14, v[2:3]
	v_mov_b32_e32 v1, 0
	s_mov_b64 s[16:17], 0
	v_mov_b32_e32 v9, v2
.LBB13_14:                              ;   Parent Loop BB13_12 Depth=1
                                        ; =>  This Inner Loop Header: Depth=2
	v_ashrrev_i32_e32 v6, 31, v5
	v_lshlrev_b64 v[10:11], 1, v[5:6]
	v_mov_b32_e32 v12, s9
	v_add_co_u32_e32 v10, vcc, s8, v10
	v_addc_co_u32_e32 v11, vcc, v12, v11, vcc
	global_load_ushort v6, v[10:11], off
	v_add_u32_e32 v9, 1, v9
	v_cmp_ge_i32_e32 vcc, v9, v7
	v_add_u32_e32 v5, 1, v5
	s_or_b64 s[16:17], vcc, s[16:17]
	s_waitcnt vmcnt(0)
	v_lshlrev_b32_e32 v6, 16, v6
	v_add_f32_e32 v1, v1, v6
	s_andn2_b64 exec, exec, s[16:17]
	s_cbranch_execnz .LBB13_14
; %bb.15:                               ;   in Loop: Header=BB13_12 Depth=1
	s_or_b64 exec, exec, s[16:17]
	s_branch .LBB13_11
.LBB13_16:
	s_endpgm
	.section	.rodata,"a",@progbits
	.p2align	6, 0x0
	.amdhsa_kernel _ZN2at6native12_GLOBAL__N_137upsample_nearest1d_backward_out_frameIN3c108BFloat16EfXadL_ZNS0_40nearest_neighbor_bw_compute_source_indexEfiiEEEEvPKT_mmmmPS5_f
		.amdhsa_group_segment_fixed_size 0
		.amdhsa_private_segment_fixed_size 0
		.amdhsa_kernarg_size 312
		.amdhsa_user_sgpr_count 6
		.amdhsa_user_sgpr_private_segment_buffer 1
		.amdhsa_user_sgpr_dispatch_ptr 0
		.amdhsa_user_sgpr_queue_ptr 0
		.amdhsa_user_sgpr_kernarg_segment_ptr 1
		.amdhsa_user_sgpr_dispatch_id 0
		.amdhsa_user_sgpr_flat_scratch_init 0
		.amdhsa_user_sgpr_private_segment_size 0
		.amdhsa_uses_dynamic_stack 0
		.amdhsa_system_sgpr_private_segment_wavefront_offset 0
		.amdhsa_system_sgpr_workgroup_id_x 1
		.amdhsa_system_sgpr_workgroup_id_y 0
		.amdhsa_system_sgpr_workgroup_id_z 0
		.amdhsa_system_sgpr_workgroup_info 0
		.amdhsa_system_vgpr_workitem_id 0
		.amdhsa_next_free_vgpr 13
		.amdhsa_next_free_sgpr 26
		.amdhsa_reserve_vcc 1
		.amdhsa_reserve_flat_scratch 0
		.amdhsa_float_round_mode_32 0
		.amdhsa_float_round_mode_16_64 0
		.amdhsa_float_denorm_mode_32 3
		.amdhsa_float_denorm_mode_16_64 3
		.amdhsa_dx10_clamp 1
		.amdhsa_ieee_mode 1
		.amdhsa_fp16_overflow 0
		.amdhsa_exception_fp_ieee_invalid_op 0
		.amdhsa_exception_fp_denorm_src 0
		.amdhsa_exception_fp_ieee_div_zero 0
		.amdhsa_exception_fp_ieee_overflow 0
		.amdhsa_exception_fp_ieee_underflow 0
		.amdhsa_exception_fp_ieee_inexact 0
		.amdhsa_exception_int_div_zero 0
	.end_amdhsa_kernel
	.section	.text._ZN2at6native12_GLOBAL__N_137upsample_nearest1d_backward_out_frameIN3c108BFloat16EfXadL_ZNS0_40nearest_neighbor_bw_compute_source_indexEfiiEEEEvPKT_mmmmPS5_f,"axG",@progbits,_ZN2at6native12_GLOBAL__N_137upsample_nearest1d_backward_out_frameIN3c108BFloat16EfXadL_ZNS0_40nearest_neighbor_bw_compute_source_indexEfiiEEEEvPKT_mmmmPS5_f,comdat
.Lfunc_end13:
	.size	_ZN2at6native12_GLOBAL__N_137upsample_nearest1d_backward_out_frameIN3c108BFloat16EfXadL_ZNS0_40nearest_neighbor_bw_compute_source_indexEfiiEEEEvPKT_mmmmPS5_f, .Lfunc_end13-_ZN2at6native12_GLOBAL__N_137upsample_nearest1d_backward_out_frameIN3c108BFloat16EfXadL_ZNS0_40nearest_neighbor_bw_compute_source_indexEfiiEEEEvPKT_mmmmPS5_f
                                        ; -- End function
	.set _ZN2at6native12_GLOBAL__N_137upsample_nearest1d_backward_out_frameIN3c108BFloat16EfXadL_ZNS0_40nearest_neighbor_bw_compute_source_indexEfiiEEEEvPKT_mmmmPS5_f.num_vgpr, 13
	.set _ZN2at6native12_GLOBAL__N_137upsample_nearest1d_backward_out_frameIN3c108BFloat16EfXadL_ZNS0_40nearest_neighbor_bw_compute_source_indexEfiiEEEEvPKT_mmmmPS5_f.num_agpr, 0
	.set _ZN2at6native12_GLOBAL__N_137upsample_nearest1d_backward_out_frameIN3c108BFloat16EfXadL_ZNS0_40nearest_neighbor_bw_compute_source_indexEfiiEEEEvPKT_mmmmPS5_f.numbered_sgpr, 26
	.set _ZN2at6native12_GLOBAL__N_137upsample_nearest1d_backward_out_frameIN3c108BFloat16EfXadL_ZNS0_40nearest_neighbor_bw_compute_source_indexEfiiEEEEvPKT_mmmmPS5_f.num_named_barrier, 0
	.set _ZN2at6native12_GLOBAL__N_137upsample_nearest1d_backward_out_frameIN3c108BFloat16EfXadL_ZNS0_40nearest_neighbor_bw_compute_source_indexEfiiEEEEvPKT_mmmmPS5_f.private_seg_size, 0
	.set _ZN2at6native12_GLOBAL__N_137upsample_nearest1d_backward_out_frameIN3c108BFloat16EfXadL_ZNS0_40nearest_neighbor_bw_compute_source_indexEfiiEEEEvPKT_mmmmPS5_f.uses_vcc, 1
	.set _ZN2at6native12_GLOBAL__N_137upsample_nearest1d_backward_out_frameIN3c108BFloat16EfXadL_ZNS0_40nearest_neighbor_bw_compute_source_indexEfiiEEEEvPKT_mmmmPS5_f.uses_flat_scratch, 0
	.set _ZN2at6native12_GLOBAL__N_137upsample_nearest1d_backward_out_frameIN3c108BFloat16EfXadL_ZNS0_40nearest_neighbor_bw_compute_source_indexEfiiEEEEvPKT_mmmmPS5_f.has_dyn_sized_stack, 0
	.set _ZN2at6native12_GLOBAL__N_137upsample_nearest1d_backward_out_frameIN3c108BFloat16EfXadL_ZNS0_40nearest_neighbor_bw_compute_source_indexEfiiEEEEvPKT_mmmmPS5_f.has_recursion, 0
	.set _ZN2at6native12_GLOBAL__N_137upsample_nearest1d_backward_out_frameIN3c108BFloat16EfXadL_ZNS0_40nearest_neighbor_bw_compute_source_indexEfiiEEEEvPKT_mmmmPS5_f.has_indirect_call, 0
	.section	.AMDGPU.csdata,"",@progbits
; Kernel info:
; codeLenInByte = 1748
; TotalNumSgprs: 30
; NumVgprs: 13
; ScratchSize: 0
; MemoryBound: 0
; FloatMode: 240
; IeeeMode: 1
; LDSByteSize: 0 bytes/workgroup (compile time only)
; SGPRBlocks: 3
; VGPRBlocks: 3
; NumSGPRsForWavesPerEU: 30
; NumVGPRsForWavesPerEU: 13
; Occupancy: 10
; WaveLimiterHint : 0
; COMPUTE_PGM_RSRC2:SCRATCH_EN: 0
; COMPUTE_PGM_RSRC2:USER_SGPR: 6
; COMPUTE_PGM_RSRC2:TRAP_HANDLER: 0
; COMPUTE_PGM_RSRC2:TGID_X_EN: 1
; COMPUTE_PGM_RSRC2:TGID_Y_EN: 0
; COMPUTE_PGM_RSRC2:TGID_Z_EN: 0
; COMPUTE_PGM_RSRC2:TIDIG_COMP_CNT: 0
	.section	.text._ZN2at6native12_GLOBAL__N_137upsample_nearest1d_backward_out_frameIhlXadL_ZNS0_40nearest_neighbor_bw_compute_source_indexEfiiEEEEvPKT_mmmmPS3_f,"axG",@progbits,_ZN2at6native12_GLOBAL__N_137upsample_nearest1d_backward_out_frameIhlXadL_ZNS0_40nearest_neighbor_bw_compute_source_indexEfiiEEEEvPKT_mmmmPS3_f,comdat
	.globl	_ZN2at6native12_GLOBAL__N_137upsample_nearest1d_backward_out_frameIhlXadL_ZNS0_40nearest_neighbor_bw_compute_source_indexEfiiEEEEvPKT_mmmmPS3_f ; -- Begin function _ZN2at6native12_GLOBAL__N_137upsample_nearest1d_backward_out_frameIhlXadL_ZNS0_40nearest_neighbor_bw_compute_source_indexEfiiEEEEvPKT_mmmmPS3_f
	.p2align	8
	.type	_ZN2at6native12_GLOBAL__N_137upsample_nearest1d_backward_out_frameIhlXadL_ZNS0_40nearest_neighbor_bw_compute_source_indexEfiiEEEEvPKT_mmmmPS3_f,@function
_ZN2at6native12_GLOBAL__N_137upsample_nearest1d_backward_out_frameIhlXadL_ZNS0_40nearest_neighbor_bw_compute_source_indexEfiiEEEEvPKT_mmmmPS3_f: ; @_ZN2at6native12_GLOBAL__N_137upsample_nearest1d_backward_out_frameIhlXadL_ZNS0_40nearest_neighbor_bw_compute_source_indexEfiiEEEEvPKT_mmmmPS3_f
; %bb.0:
	s_load_dword s0, s[4:5], 0x44
	s_load_dwordx4 s[16:19], s[4:5], 0x20
	s_load_dwordx8 s[8:15], s[4:5], 0x0
	s_waitcnt lgkmcnt(0)
	s_and_b32 s0, s0, 0xffff
	s_mul_i32 s6, s6, s0
	s_mul_i32 s0, s16, s13
	s_mul_hi_u32 s1, s16, s12
	v_add_u32_e32 v0, s6, v0
	s_add_i32 s0, s1, s0
	s_mul_i32 s1, s17, s12
	v_ashrrev_i32_e32 v1, 31, v0
	s_add_i32 s3, s0, s1
	s_mul_i32 s2, s16, s12
	v_cmp_gt_u64_e32 vcc, s[2:3], v[0:1]
	s_and_saveexec_b64 s[0:1], vcc
	s_cbranch_execz .LBB14_16
; %bb.1:
	v_or_b32_e32 v3, s17, v1
	v_mov_b32_e32 v2, 0
	v_cmp_ne_u64_e32 vcc, 0, v[2:3]
                                        ; implicit-def: $vgpr2_vgpr3
	s_and_saveexec_b64 s[0:1], vcc
	s_xor_b64 s[6:7], exec, s[0:1]
	s_cbranch_execz .LBB14_3
; %bb.2:
	v_cvt_f32_u32_e32 v2, s16
	v_cvt_f32_u32_e32 v3, s17
	s_sub_u32 s3, 0, s16
	s_subb_u32 s15, 0, s17
	v_madmk_f32 v2, v3, 0x4f800000, v2
	v_rcp_f32_e32 v2, v2
	v_mul_f32_e32 v2, 0x5f7ffffc, v2
	v_mul_f32_e32 v3, 0x2f800000, v2
	v_trunc_f32_e32 v3, v3
	v_madmk_f32 v2, v3, 0xcf800000, v2
	v_cvt_u32_f32_e32 v3, v3
	v_cvt_u32_f32_e32 v2, v2
	v_readfirstlane_b32 s20, v3
	v_readfirstlane_b32 s0, v2
	s_mul_i32 s1, s3, s20
	s_mul_hi_u32 s22, s3, s0
	s_mul_i32 s21, s15, s0
	s_add_i32 s1, s22, s1
	s_mul_i32 s23, s3, s0
	s_add_i32 s1, s1, s21
	s_mul_i32 s22, s0, s1
	s_mul_hi_u32 s24, s0, s23
	s_mul_hi_u32 s21, s0, s1
	s_add_u32 s22, s24, s22
	s_addc_u32 s21, 0, s21
	s_mul_hi_u32 s25, s20, s23
	s_mul_i32 s23, s20, s23
	s_add_u32 s22, s22, s23
	s_mul_hi_u32 s24, s20, s1
	s_addc_u32 s21, s21, s25
	s_addc_u32 s22, s24, 0
	s_mul_i32 s1, s20, s1
	s_add_u32 s1, s21, s1
	s_addc_u32 s21, 0, s22
	s_add_u32 s22, s0, s1
	s_cselect_b64 s[0:1], -1, 0
	s_cmp_lg_u64 s[0:1], 0
	s_addc_u32 s20, s20, s21
	s_mul_i32 s0, s3, s20
	s_mul_hi_u32 s1, s3, s22
	s_add_i32 s0, s1, s0
	s_mul_i32 s15, s15, s22
	s_add_i32 s0, s0, s15
	s_mul_i32 s3, s3, s22
	s_mul_hi_u32 s15, s20, s3
	s_mul_i32 s21, s20, s3
	s_mul_i32 s24, s22, s0
	s_mul_hi_u32 s3, s22, s3
	s_mul_hi_u32 s23, s22, s0
	s_add_u32 s3, s3, s24
	s_addc_u32 s23, 0, s23
	s_add_u32 s3, s3, s21
	s_mul_hi_u32 s1, s20, s0
	s_addc_u32 s3, s23, s15
	s_addc_u32 s1, s1, 0
	s_mul_i32 s0, s20, s0
	s_add_u32 s0, s3, s0
	s_addc_u32 s3, 0, s1
	s_add_u32 s15, s22, s0
	s_cselect_b64 s[0:1], -1, 0
	s_cmp_lg_u64 s[0:1], 0
	s_addc_u32 s3, s20, s3
	v_mad_u64_u32 v[2:3], s[0:1], v0, s3, 0
	v_mul_hi_u32 v4, v0, s15
	v_add_co_u32_e32 v6, vcc, v4, v2
	v_addc_co_u32_e32 v7, vcc, 0, v3, vcc
	v_mad_u64_u32 v[2:3], s[0:1], v1, s15, 0
	v_mad_u64_u32 v[4:5], s[0:1], v1, s3, 0
	v_add_co_u32_e32 v2, vcc, v6, v2
	v_addc_co_u32_e32 v2, vcc, v7, v3, vcc
	v_addc_co_u32_e32 v3, vcc, 0, v5, vcc
	v_add_co_u32_e32 v4, vcc, v2, v4
	v_addc_co_u32_e32 v5, vcc, 0, v3, vcc
	v_mul_lo_u32 v6, s17, v4
	v_mul_lo_u32 v7, s16, v5
	v_mad_u64_u32 v[2:3], s[0:1], s16, v4, 0
	v_add3_u32 v3, v3, v7, v6
	v_sub_u32_e32 v6, v1, v3
	v_mov_b32_e32 v7, s17
	v_sub_co_u32_e32 v2, vcc, v0, v2
	v_subb_co_u32_e64 v6, s[0:1], v6, v7, vcc
	v_subrev_co_u32_e64 v7, s[0:1], s16, v2
	v_subbrev_co_u32_e64 v6, s[0:1], 0, v6, s[0:1]
	v_cmp_le_u32_e64 s[0:1], s17, v6
	v_cndmask_b32_e64 v8, 0, -1, s[0:1]
	v_cmp_le_u32_e64 s[0:1], s16, v7
	v_cndmask_b32_e64 v7, 0, -1, s[0:1]
	v_cmp_eq_u32_e64 s[0:1], s17, v6
	v_cndmask_b32_e64 v6, v8, v7, s[0:1]
	v_add_co_u32_e64 v7, s[0:1], 2, v4
	v_subb_co_u32_e32 v1, vcc, v1, v3, vcc
	v_addc_co_u32_e64 v8, s[0:1], 0, v5, s[0:1]
	v_cmp_le_u32_e32 vcc, s17, v1
	v_add_co_u32_e64 v9, s[0:1], 1, v4
	v_cndmask_b32_e64 v3, 0, -1, vcc
	v_cmp_le_u32_e32 vcc, s16, v2
	v_addc_co_u32_e64 v10, s[0:1], 0, v5, s[0:1]
	v_cndmask_b32_e64 v2, 0, -1, vcc
	v_cmp_eq_u32_e32 vcc, s17, v1
	v_cmp_ne_u32_e64 s[0:1], 0, v6
	v_cndmask_b32_e32 v1, v3, v2, vcc
	v_cndmask_b32_e64 v6, v10, v8, s[0:1]
	v_cmp_ne_u32_e32 vcc, 0, v1
	v_cndmask_b32_e64 v1, v9, v7, s[0:1]
	v_cndmask_b32_e32 v3, v5, v6, vcc
	v_cndmask_b32_e32 v2, v4, v1, vcc
.LBB14_3:
	s_andn2_saveexec_b64 s[0:1], s[6:7]
	s_cbranch_execz .LBB14_5
; %bb.4:
	v_cvt_f32_u32_e32 v1, s16
	s_sub_i32 s3, 0, s16
	v_rcp_iflag_f32_e32 v1, v1
	v_mul_f32_e32 v1, 0x4f7ffffe, v1
	v_cvt_u32_f32_e32 v1, v1
	v_mul_lo_u32 v2, s3, v1
	v_mul_hi_u32 v2, v1, v2
	v_add_u32_e32 v1, v1, v2
	v_mul_hi_u32 v1, v0, v1
	v_mul_lo_u32 v2, v1, s16
	v_add_u32_e32 v3, 1, v1
	v_sub_u32_e32 v2, v0, v2
	v_subrev_u32_e32 v4, s16, v2
	v_cmp_le_u32_e32 vcc, s16, v2
	v_cndmask_b32_e32 v2, v2, v4, vcc
	v_cndmask_b32_e32 v1, v1, v3, vcc
	v_add_u32_e32 v3, 1, v1
	v_cmp_le_u32_e32 vcc, s16, v2
	v_cndmask_b32_e32 v2, v1, v3, vcc
	v_mov_b32_e32 v3, 0
.LBB14_5:
	s_or_b64 exec, exec, s[0:1]
	v_or_b32_e32 v5, s13, v3
	v_mov_b32_e32 v4, 0
	v_cmp_ne_u64_e32 vcc, 0, v[4:5]
                                        ; implicit-def: $vgpr4_vgpr5
	s_and_saveexec_b64 s[0:1], vcc
	s_xor_b64 s[6:7], exec, s[0:1]
	s_cbranch_execnz .LBB14_8
; %bb.6:
	s_andn2_saveexec_b64 s[0:1], s[6:7]
	s_cbranch_execnz .LBB14_9
.LBB14_7:
	s_or_b64 exec, exec, s[0:1]
	s_cmp_eq_u64 s[10:11], 0
	s_mov_b64 s[6:7], 0
	s_cbranch_scc0 .LBB14_10
	s_branch .LBB14_16
.LBB14_8:
	v_cvt_f32_u32_e32 v1, s12
	v_cvt_f32_u32_e32 v4, s13
	s_sub_u32 s3, 0, s12
	s_subb_u32 s15, 0, s13
	v_madmk_f32 v1, v4, 0x4f800000, v1
	v_rcp_f32_e32 v1, v1
	v_mul_f32_e32 v1, 0x5f7ffffc, v1
	v_mul_f32_e32 v4, 0x2f800000, v1
	v_trunc_f32_e32 v4, v4
	v_madmk_f32 v1, v4, 0xcf800000, v1
	v_cvt_u32_f32_e32 v4, v4
	v_cvt_u32_f32_e32 v1, v1
	v_readfirstlane_b32 s17, v4
	v_readfirstlane_b32 s0, v1
	s_mul_i32 s1, s3, s17
	s_mul_hi_u32 s21, s3, s0
	s_mul_i32 s20, s15, s0
	s_add_i32 s1, s21, s1
	s_mul_i32 s22, s3, s0
	s_add_i32 s1, s1, s20
	s_mul_i32 s21, s0, s1
	s_mul_hi_u32 s23, s0, s22
	s_mul_hi_u32 s20, s0, s1
	s_add_u32 s21, s23, s21
	s_addc_u32 s20, 0, s20
	s_mul_hi_u32 s24, s17, s22
	s_mul_i32 s22, s17, s22
	s_add_u32 s21, s21, s22
	s_mul_hi_u32 s23, s17, s1
	s_addc_u32 s20, s20, s24
	s_addc_u32 s21, s23, 0
	s_mul_i32 s1, s17, s1
	s_add_u32 s1, s20, s1
	s_addc_u32 s20, 0, s21
	s_add_u32 s21, s0, s1
	s_cselect_b64 s[0:1], -1, 0
	s_cmp_lg_u64 s[0:1], 0
	s_addc_u32 s17, s17, s20
	s_mul_i32 s0, s3, s17
	s_mul_hi_u32 s1, s3, s21
	s_add_i32 s0, s1, s0
	s_mul_i32 s15, s15, s21
	s_add_i32 s0, s0, s15
	s_mul_i32 s3, s3, s21
	s_mul_hi_u32 s15, s17, s3
	s_mul_i32 s20, s17, s3
	s_mul_i32 s23, s21, s0
	s_mul_hi_u32 s3, s21, s3
	s_mul_hi_u32 s22, s21, s0
	s_add_u32 s3, s3, s23
	s_addc_u32 s22, 0, s22
	s_add_u32 s3, s3, s20
	s_mul_hi_u32 s1, s17, s0
	s_addc_u32 s3, s22, s15
	s_addc_u32 s1, s1, 0
	s_mul_i32 s0, s17, s0
	s_add_u32 s0, s3, s0
	s_addc_u32 s3, 0, s1
	s_add_u32 s15, s21, s0
	s_cselect_b64 s[0:1], -1, 0
	s_cmp_lg_u64 s[0:1], 0
	s_addc_u32 s3, s17, s3
	v_mad_u64_u32 v[4:5], s[0:1], v2, s3, 0
	v_mul_hi_u32 v1, v2, s15
	v_mad_u64_u32 v[6:7], s[0:1], v3, s3, 0
	v_add_co_u32_e32 v1, vcc, v1, v4
	v_addc_co_u32_e32 v8, vcc, 0, v5, vcc
	v_mad_u64_u32 v[4:5], s[0:1], v3, s15, 0
	v_add_co_u32_e32 v1, vcc, v1, v4
	v_addc_co_u32_e32 v1, vcc, v8, v5, vcc
	v_addc_co_u32_e32 v4, vcc, 0, v7, vcc
	v_add_co_u32_e32 v1, vcc, v1, v6
	v_addc_co_u32_e32 v4, vcc, 0, v4, vcc
	v_mul_lo_u32 v6, s13, v1
	v_mul_lo_u32 v7, s12, v4
	v_mad_u64_u32 v[4:5], s[0:1], s12, v1, 0
	v_add3_u32 v1, v5, v7, v6
	v_sub_u32_e32 v5, v3, v1
	v_mov_b32_e32 v6, s13
	v_sub_co_u32_e32 v4, vcc, v2, v4
	v_subb_co_u32_e64 v5, s[0:1], v5, v6, vcc
	v_subrev_co_u32_e64 v6, s[0:1], s12, v4
	v_subbrev_co_u32_e64 v5, s[0:1], 0, v5, s[0:1]
	v_cmp_le_u32_e64 s[0:1], s13, v5
	v_subb_co_u32_e32 v1, vcc, v3, v1, vcc
	v_cndmask_b32_e64 v7, 0, -1, s[0:1]
	v_cmp_le_u32_e64 s[0:1], s12, v6
	v_cmp_le_u32_e32 vcc, s13, v1
	v_cndmask_b32_e64 v8, 0, -1, s[0:1]
	v_cmp_eq_u32_e64 s[0:1], s13, v5
	v_cndmask_b32_e64 v3, 0, -1, vcc
	v_cmp_le_u32_e32 vcc, s12, v4
	v_cndmask_b32_e64 v5, v7, v8, s[0:1]
	v_cndmask_b32_e64 v8, 0, -1, vcc
	v_cmp_eq_u32_e32 vcc, s13, v1
	v_subrev_co_u32_e64 v7, s[0:1], s12, v6
	v_cndmask_b32_e32 v1, v3, v8, vcc
	v_cmp_ne_u32_e32 vcc, 0, v5
	v_cndmask_b32_e32 v3, v6, v7, vcc
	v_cmp_ne_u32_e32 vcc, 0, v1
	v_cndmask_b32_e32 v4, v4, v3, vcc
	s_andn2_saveexec_b64 s[0:1], s[6:7]
	s_cbranch_execz .LBB14_7
.LBB14_9:
	v_cvt_f32_u32_e32 v1, s12
	s_sub_i32 s3, 0, s12
	v_rcp_iflag_f32_e32 v1, v1
	v_mul_f32_e32 v1, 0x4f7ffffe, v1
	v_cvt_u32_f32_e32 v1, v1
	v_mul_lo_u32 v3, s3, v1
	v_mul_hi_u32 v3, v1, v3
	v_add_u32_e32 v1, v1, v3
	v_mul_hi_u32 v1, v2, v1
	v_mul_lo_u32 v1, v1, s12
	v_sub_u32_e32 v1, v2, v1
	v_subrev_u32_e32 v3, s12, v1
	v_cmp_le_u32_e32 vcc, s12, v1
	v_cndmask_b32_e32 v1, v1, v3, vcc
	v_subrev_u32_e32 v3, s12, v1
	v_cmp_le_u32_e32 vcc, s12, v1
	v_cndmask_b32_e32 v4, v1, v3, vcc
	s_or_b64 exec, exec, s[0:1]
	s_cmp_eq_u64 s[10:11], 0
	s_mov_b64 s[6:7], 0
	s_cbranch_scc1 .LBB14_16
.LBB14_10:
	v_mul_lo_u32 v1, v2, s16
	s_load_dword s0, s[4:5], 0x30
	v_mov_b32_e32 v8, s19
	v_sub_u32_e32 v1, v0, v1
	v_cvt_f32_i32_e32 v2, v1
	v_add_u32_e32 v1, 1, v1
	v_cvt_f32_i32_e32 v1, v1
	s_waitcnt lgkmcnt(0)
	v_mul_f32_e32 v2, s0, v2
	v_ceil_f32_e32 v2, v2
	v_mul_f32_e32 v1, s0, v1
	v_ceil_f32_e32 v1, v1
	v_cvt_i32_f32_e32 v3, v1
	v_cvt_i32_f32_e32 v2, v2
	v_min_i32_e32 v7, s14, v3
	v_min_i32_e32 v1, s14, v2
	v_cmp_gt_i32_e64 s[0:1], v7, v2
	s_branch .LBB14_12
.LBB14_11:                              ;   in Loop: Header=BB14_12 Depth=1
	s_or_b64 exec, exec, s[4:5]
	v_ashrrev_i32_e32 v3, 31, v0
	v_add_co_u32_e32 v5, vcc, s18, v0
	v_addc_co_u32_e32 v6, vcc, v8, v3, vcc
	s_add_u32 s6, s6, 1
	global_store_byte v[5:6], v2, off
	s_addc_u32 s7, s7, 0
	v_mov_b32_e32 v2, s6
	v_mov_b32_e32 v3, s7
	v_cmp_le_u64_e32 vcc, s[10:11], v[2:3]
	v_add_u32_e32 v0, s2, v0
	s_cbranch_vccnz .LBB14_16
.LBB14_12:                              ; =>This Loop Header: Depth=1
                                        ;     Child Loop BB14_14 Depth 2
	v_mov_b32_e32 v2, 0
	s_and_saveexec_b64 s[4:5], s[0:1]
	s_cbranch_execz .LBB14_11
; %bb.13:                               ;   in Loop: Header=BB14_12 Depth=1
	s_mul_i32 s3, s6, s12
	v_add_u32_e32 v2, s3, v4
	v_mad_u64_u32 v[5:6], s[16:17], v2, s14, v[1:2]
	v_mov_b32_e32 v2, 0
	s_mov_b64 s[16:17], 0
	v_mov_b32_e32 v3, 0
	v_mov_b32_e32 v6, v1
.LBB14_14:                              ;   Parent Loop BB14_12 Depth=1
                                        ; =>  This Inner Loop Header: Depth=2
	v_ashrrev_i32_e32 v10, 31, v5
	v_mov_b32_e32 v11, s9
	v_add_co_u32_e32 v9, vcc, s8, v5
	v_addc_co_u32_e32 v10, vcc, v11, v10, vcc
	global_load_ubyte v9, v[9:10], off
	v_add_u32_e32 v6, 1, v6
	v_cmp_ge_i32_e32 vcc, v6, v7
	s_or_b64 s[16:17], vcc, s[16:17]
	v_add_u32_e32 v5, 1, v5
	s_waitcnt vmcnt(0)
	v_and_b32_e32 v9, 0xffff, v9
	v_add_co_u32_e32 v2, vcc, v2, v9
	v_addc_co_u32_e32 v3, vcc, 0, v3, vcc
	s_andn2_b64 exec, exec, s[16:17]
	s_cbranch_execnz .LBB14_14
; %bb.15:                               ;   in Loop: Header=BB14_12 Depth=1
	s_or_b64 exec, exec, s[16:17]
	s_branch .LBB14_11
.LBB14_16:
	s_endpgm
	.section	.rodata,"a",@progbits
	.p2align	6, 0x0
	.amdhsa_kernel _ZN2at6native12_GLOBAL__N_137upsample_nearest1d_backward_out_frameIhlXadL_ZNS0_40nearest_neighbor_bw_compute_source_indexEfiiEEEEvPKT_mmmmPS3_f
		.amdhsa_group_segment_fixed_size 0
		.amdhsa_private_segment_fixed_size 0
		.amdhsa_kernarg_size 312
		.amdhsa_user_sgpr_count 6
		.amdhsa_user_sgpr_private_segment_buffer 1
		.amdhsa_user_sgpr_dispatch_ptr 0
		.amdhsa_user_sgpr_queue_ptr 0
		.amdhsa_user_sgpr_kernarg_segment_ptr 1
		.amdhsa_user_sgpr_dispatch_id 0
		.amdhsa_user_sgpr_flat_scratch_init 0
		.amdhsa_user_sgpr_private_segment_size 0
		.amdhsa_uses_dynamic_stack 0
		.amdhsa_system_sgpr_private_segment_wavefront_offset 0
		.amdhsa_system_sgpr_workgroup_id_x 1
		.amdhsa_system_sgpr_workgroup_id_y 0
		.amdhsa_system_sgpr_workgroup_id_z 0
		.amdhsa_system_sgpr_workgroup_info 0
		.amdhsa_system_vgpr_workitem_id 0
		.amdhsa_next_free_vgpr 12
		.amdhsa_next_free_sgpr 26
		.amdhsa_reserve_vcc 1
		.amdhsa_reserve_flat_scratch 0
		.amdhsa_float_round_mode_32 0
		.amdhsa_float_round_mode_16_64 0
		.amdhsa_float_denorm_mode_32 3
		.amdhsa_float_denorm_mode_16_64 3
		.amdhsa_dx10_clamp 1
		.amdhsa_ieee_mode 1
		.amdhsa_fp16_overflow 0
		.amdhsa_exception_fp_ieee_invalid_op 0
		.amdhsa_exception_fp_denorm_src 0
		.amdhsa_exception_fp_ieee_div_zero 0
		.amdhsa_exception_fp_ieee_overflow 0
		.amdhsa_exception_fp_ieee_underflow 0
		.amdhsa_exception_fp_ieee_inexact 0
		.amdhsa_exception_int_div_zero 0
	.end_amdhsa_kernel
	.section	.text._ZN2at6native12_GLOBAL__N_137upsample_nearest1d_backward_out_frameIhlXadL_ZNS0_40nearest_neighbor_bw_compute_source_indexEfiiEEEEvPKT_mmmmPS3_f,"axG",@progbits,_ZN2at6native12_GLOBAL__N_137upsample_nearest1d_backward_out_frameIhlXadL_ZNS0_40nearest_neighbor_bw_compute_source_indexEfiiEEEEvPKT_mmmmPS3_f,comdat
.Lfunc_end14:
	.size	_ZN2at6native12_GLOBAL__N_137upsample_nearest1d_backward_out_frameIhlXadL_ZNS0_40nearest_neighbor_bw_compute_source_indexEfiiEEEEvPKT_mmmmPS3_f, .Lfunc_end14-_ZN2at6native12_GLOBAL__N_137upsample_nearest1d_backward_out_frameIhlXadL_ZNS0_40nearest_neighbor_bw_compute_source_indexEfiiEEEEvPKT_mmmmPS3_f
                                        ; -- End function
	.set _ZN2at6native12_GLOBAL__N_137upsample_nearest1d_backward_out_frameIhlXadL_ZNS0_40nearest_neighbor_bw_compute_source_indexEfiiEEEEvPKT_mmmmPS3_f.num_vgpr, 12
	.set _ZN2at6native12_GLOBAL__N_137upsample_nearest1d_backward_out_frameIhlXadL_ZNS0_40nearest_neighbor_bw_compute_source_indexEfiiEEEEvPKT_mmmmPS3_f.num_agpr, 0
	.set _ZN2at6native12_GLOBAL__N_137upsample_nearest1d_backward_out_frameIhlXadL_ZNS0_40nearest_neighbor_bw_compute_source_indexEfiiEEEEvPKT_mmmmPS3_f.numbered_sgpr, 26
	.set _ZN2at6native12_GLOBAL__N_137upsample_nearest1d_backward_out_frameIhlXadL_ZNS0_40nearest_neighbor_bw_compute_source_indexEfiiEEEEvPKT_mmmmPS3_f.num_named_barrier, 0
	.set _ZN2at6native12_GLOBAL__N_137upsample_nearest1d_backward_out_frameIhlXadL_ZNS0_40nearest_neighbor_bw_compute_source_indexEfiiEEEEvPKT_mmmmPS3_f.private_seg_size, 0
	.set _ZN2at6native12_GLOBAL__N_137upsample_nearest1d_backward_out_frameIhlXadL_ZNS0_40nearest_neighbor_bw_compute_source_indexEfiiEEEEvPKT_mmmmPS3_f.uses_vcc, 1
	.set _ZN2at6native12_GLOBAL__N_137upsample_nearest1d_backward_out_frameIhlXadL_ZNS0_40nearest_neighbor_bw_compute_source_indexEfiiEEEEvPKT_mmmmPS3_f.uses_flat_scratch, 0
	.set _ZN2at6native12_GLOBAL__N_137upsample_nearest1d_backward_out_frameIhlXadL_ZNS0_40nearest_neighbor_bw_compute_source_indexEfiiEEEEvPKT_mmmmPS3_f.has_dyn_sized_stack, 0
	.set _ZN2at6native12_GLOBAL__N_137upsample_nearest1d_backward_out_frameIhlXadL_ZNS0_40nearest_neighbor_bw_compute_source_indexEfiiEEEEvPKT_mmmmPS3_f.has_recursion, 0
	.set _ZN2at6native12_GLOBAL__N_137upsample_nearest1d_backward_out_frameIhlXadL_ZNS0_40nearest_neighbor_bw_compute_source_indexEfiiEEEEvPKT_mmmmPS3_f.has_indirect_call, 0
	.section	.AMDGPU.csdata,"",@progbits
; Kernel info:
; codeLenInByte = 1704
; TotalNumSgprs: 30
; NumVgprs: 12
; ScratchSize: 0
; MemoryBound: 0
; FloatMode: 240
; IeeeMode: 1
; LDSByteSize: 0 bytes/workgroup (compile time only)
; SGPRBlocks: 3
; VGPRBlocks: 2
; NumSGPRsForWavesPerEU: 30
; NumVGPRsForWavesPerEU: 12
; Occupancy: 10
; WaveLimiterHint : 0
; COMPUTE_PGM_RSRC2:SCRATCH_EN: 0
; COMPUTE_PGM_RSRC2:USER_SGPR: 6
; COMPUTE_PGM_RSRC2:TRAP_HANDLER: 0
; COMPUTE_PGM_RSRC2:TGID_X_EN: 1
; COMPUTE_PGM_RSRC2:TGID_Y_EN: 0
; COMPUTE_PGM_RSRC2:TGID_Z_EN: 0
; COMPUTE_PGM_RSRC2:TIDIG_COMP_CNT: 0
	.section	.text._ZN2at6native12_GLOBAL__N_137upsample_nearest1d_backward_out_frameIddXadL_ZNS0_46nearest_neighbor_exact_bw_compute_source_indexEfiiEEEEvPKT_mmmmPS3_f,"axG",@progbits,_ZN2at6native12_GLOBAL__N_137upsample_nearest1d_backward_out_frameIddXadL_ZNS0_46nearest_neighbor_exact_bw_compute_source_indexEfiiEEEEvPKT_mmmmPS3_f,comdat
	.globl	_ZN2at6native12_GLOBAL__N_137upsample_nearest1d_backward_out_frameIddXadL_ZNS0_46nearest_neighbor_exact_bw_compute_source_indexEfiiEEEEvPKT_mmmmPS3_f ; -- Begin function _ZN2at6native12_GLOBAL__N_137upsample_nearest1d_backward_out_frameIddXadL_ZNS0_46nearest_neighbor_exact_bw_compute_source_indexEfiiEEEEvPKT_mmmmPS3_f
	.p2align	8
	.type	_ZN2at6native12_GLOBAL__N_137upsample_nearest1d_backward_out_frameIddXadL_ZNS0_46nearest_neighbor_exact_bw_compute_source_indexEfiiEEEEvPKT_mmmmPS3_f,@function
_ZN2at6native12_GLOBAL__N_137upsample_nearest1d_backward_out_frameIddXadL_ZNS0_46nearest_neighbor_exact_bw_compute_source_indexEfiiEEEEvPKT_mmmmPS3_f: ; @_ZN2at6native12_GLOBAL__N_137upsample_nearest1d_backward_out_frameIddXadL_ZNS0_46nearest_neighbor_exact_bw_compute_source_indexEfiiEEEEvPKT_mmmmPS3_f
; %bb.0:
	s_load_dword s0, s[4:5], 0x44
	s_load_dwordx4 s[16:19], s[4:5], 0x20
	s_load_dwordx8 s[8:15], s[4:5], 0x0
	s_waitcnt lgkmcnt(0)
	s_and_b32 s0, s0, 0xffff
	s_mul_i32 s6, s6, s0
	s_mul_i32 s0, s16, s13
	s_mul_hi_u32 s1, s16, s12
	v_add_u32_e32 v0, s6, v0
	s_add_i32 s0, s1, s0
	s_mul_i32 s1, s17, s12
	v_ashrrev_i32_e32 v1, 31, v0
	s_add_i32 s3, s0, s1
	s_mul_i32 s2, s16, s12
	v_cmp_gt_u64_e32 vcc, s[2:3], v[0:1]
	s_and_saveexec_b64 s[0:1], vcc
	s_cbranch_execz .LBB15_16
; %bb.1:
	v_or_b32_e32 v3, s17, v1
	v_mov_b32_e32 v2, 0
	v_cmp_ne_u64_e32 vcc, 0, v[2:3]
                                        ; implicit-def: $vgpr2_vgpr3
	s_and_saveexec_b64 s[0:1], vcc
	s_xor_b64 s[6:7], exec, s[0:1]
	s_cbranch_execz .LBB15_3
; %bb.2:
	v_cvt_f32_u32_e32 v2, s16
	v_cvt_f32_u32_e32 v3, s17
	s_sub_u32 s3, 0, s16
	s_subb_u32 s15, 0, s17
	v_madmk_f32 v2, v3, 0x4f800000, v2
	v_rcp_f32_e32 v2, v2
	v_mul_f32_e32 v2, 0x5f7ffffc, v2
	v_mul_f32_e32 v3, 0x2f800000, v2
	v_trunc_f32_e32 v3, v3
	v_madmk_f32 v2, v3, 0xcf800000, v2
	v_cvt_u32_f32_e32 v3, v3
	v_cvt_u32_f32_e32 v2, v2
	v_readfirstlane_b32 s20, v3
	v_readfirstlane_b32 s0, v2
	s_mul_i32 s1, s3, s20
	s_mul_hi_u32 s22, s3, s0
	s_mul_i32 s21, s15, s0
	s_add_i32 s1, s22, s1
	s_mul_i32 s23, s3, s0
	s_add_i32 s1, s1, s21
	s_mul_i32 s22, s0, s1
	s_mul_hi_u32 s24, s0, s23
	s_mul_hi_u32 s21, s0, s1
	s_add_u32 s22, s24, s22
	s_addc_u32 s21, 0, s21
	s_mul_hi_u32 s25, s20, s23
	s_mul_i32 s23, s20, s23
	s_add_u32 s22, s22, s23
	s_mul_hi_u32 s24, s20, s1
	s_addc_u32 s21, s21, s25
	s_addc_u32 s22, s24, 0
	s_mul_i32 s1, s20, s1
	s_add_u32 s1, s21, s1
	s_addc_u32 s21, 0, s22
	s_add_u32 s22, s0, s1
	s_cselect_b64 s[0:1], -1, 0
	s_cmp_lg_u64 s[0:1], 0
	s_addc_u32 s20, s20, s21
	s_mul_i32 s0, s3, s20
	s_mul_hi_u32 s1, s3, s22
	s_add_i32 s0, s1, s0
	s_mul_i32 s15, s15, s22
	s_add_i32 s0, s0, s15
	s_mul_i32 s3, s3, s22
	s_mul_hi_u32 s15, s20, s3
	s_mul_i32 s21, s20, s3
	s_mul_i32 s24, s22, s0
	s_mul_hi_u32 s3, s22, s3
	s_mul_hi_u32 s23, s22, s0
	s_add_u32 s3, s3, s24
	s_addc_u32 s23, 0, s23
	s_add_u32 s3, s3, s21
	s_mul_hi_u32 s1, s20, s0
	s_addc_u32 s3, s23, s15
	s_addc_u32 s1, s1, 0
	s_mul_i32 s0, s20, s0
	s_add_u32 s0, s3, s0
	s_addc_u32 s3, 0, s1
	s_add_u32 s15, s22, s0
	s_cselect_b64 s[0:1], -1, 0
	s_cmp_lg_u64 s[0:1], 0
	s_addc_u32 s3, s20, s3
	v_mad_u64_u32 v[2:3], s[0:1], v0, s3, 0
	v_mul_hi_u32 v4, v0, s15
	v_add_co_u32_e32 v6, vcc, v4, v2
	v_addc_co_u32_e32 v7, vcc, 0, v3, vcc
	v_mad_u64_u32 v[2:3], s[0:1], v1, s15, 0
	v_mad_u64_u32 v[4:5], s[0:1], v1, s3, 0
	v_add_co_u32_e32 v2, vcc, v6, v2
	v_addc_co_u32_e32 v2, vcc, v7, v3, vcc
	v_addc_co_u32_e32 v3, vcc, 0, v5, vcc
	v_add_co_u32_e32 v4, vcc, v2, v4
	v_addc_co_u32_e32 v5, vcc, 0, v3, vcc
	v_mul_lo_u32 v6, s17, v4
	v_mul_lo_u32 v7, s16, v5
	v_mad_u64_u32 v[2:3], s[0:1], s16, v4, 0
	v_add3_u32 v3, v3, v7, v6
	v_sub_u32_e32 v6, v1, v3
	v_mov_b32_e32 v7, s17
	v_sub_co_u32_e32 v2, vcc, v0, v2
	v_subb_co_u32_e64 v6, s[0:1], v6, v7, vcc
	v_subrev_co_u32_e64 v7, s[0:1], s16, v2
	v_subbrev_co_u32_e64 v6, s[0:1], 0, v6, s[0:1]
	v_cmp_le_u32_e64 s[0:1], s17, v6
	v_cndmask_b32_e64 v8, 0, -1, s[0:1]
	v_cmp_le_u32_e64 s[0:1], s16, v7
	v_cndmask_b32_e64 v7, 0, -1, s[0:1]
	v_cmp_eq_u32_e64 s[0:1], s17, v6
	v_cndmask_b32_e64 v6, v8, v7, s[0:1]
	v_add_co_u32_e64 v7, s[0:1], 2, v4
	v_subb_co_u32_e32 v1, vcc, v1, v3, vcc
	v_addc_co_u32_e64 v8, s[0:1], 0, v5, s[0:1]
	v_cmp_le_u32_e32 vcc, s17, v1
	v_add_co_u32_e64 v9, s[0:1], 1, v4
	v_cndmask_b32_e64 v3, 0, -1, vcc
	v_cmp_le_u32_e32 vcc, s16, v2
	v_addc_co_u32_e64 v10, s[0:1], 0, v5, s[0:1]
	v_cndmask_b32_e64 v2, 0, -1, vcc
	v_cmp_eq_u32_e32 vcc, s17, v1
	v_cmp_ne_u32_e64 s[0:1], 0, v6
	v_cndmask_b32_e32 v1, v3, v2, vcc
	v_cndmask_b32_e64 v6, v10, v8, s[0:1]
	v_cmp_ne_u32_e32 vcc, 0, v1
	v_cndmask_b32_e64 v1, v9, v7, s[0:1]
	v_cndmask_b32_e32 v3, v5, v6, vcc
	v_cndmask_b32_e32 v2, v4, v1, vcc
.LBB15_3:
	s_andn2_saveexec_b64 s[0:1], s[6:7]
	s_cbranch_execz .LBB15_5
; %bb.4:
	v_cvt_f32_u32_e32 v1, s16
	s_sub_i32 s3, 0, s16
	v_rcp_iflag_f32_e32 v1, v1
	v_mul_f32_e32 v1, 0x4f7ffffe, v1
	v_cvt_u32_f32_e32 v1, v1
	v_mul_lo_u32 v2, s3, v1
	v_mul_hi_u32 v2, v1, v2
	v_add_u32_e32 v1, v1, v2
	v_mul_hi_u32 v1, v0, v1
	v_mul_lo_u32 v2, v1, s16
	v_add_u32_e32 v3, 1, v1
	v_sub_u32_e32 v2, v0, v2
	v_subrev_u32_e32 v4, s16, v2
	v_cmp_le_u32_e32 vcc, s16, v2
	v_cndmask_b32_e32 v2, v2, v4, vcc
	v_cndmask_b32_e32 v1, v1, v3, vcc
	v_add_u32_e32 v3, 1, v1
	v_cmp_le_u32_e32 vcc, s16, v2
	v_cndmask_b32_e32 v2, v1, v3, vcc
	v_mov_b32_e32 v3, 0
.LBB15_5:
	s_or_b64 exec, exec, s[0:1]
	v_or_b32_e32 v5, s13, v3
	v_mov_b32_e32 v4, 0
	v_cmp_ne_u64_e32 vcc, 0, v[4:5]
                                        ; implicit-def: $vgpr4_vgpr5
	s_and_saveexec_b64 s[0:1], vcc
	s_xor_b64 s[6:7], exec, s[0:1]
	s_cbranch_execnz .LBB15_8
; %bb.6:
	s_andn2_saveexec_b64 s[0:1], s[6:7]
	s_cbranch_execnz .LBB15_9
.LBB15_7:
	s_or_b64 exec, exec, s[0:1]
	s_cmp_eq_u64 s[10:11], 0
	s_mov_b64 s[6:7], 0
	s_cbranch_scc0 .LBB15_10
	s_branch .LBB15_16
.LBB15_8:
	v_cvt_f32_u32_e32 v1, s12
	v_cvt_f32_u32_e32 v4, s13
	s_sub_u32 s3, 0, s12
	s_subb_u32 s15, 0, s13
	v_madmk_f32 v1, v4, 0x4f800000, v1
	v_rcp_f32_e32 v1, v1
	v_mul_f32_e32 v1, 0x5f7ffffc, v1
	v_mul_f32_e32 v4, 0x2f800000, v1
	v_trunc_f32_e32 v4, v4
	v_madmk_f32 v1, v4, 0xcf800000, v1
	v_cvt_u32_f32_e32 v4, v4
	v_cvt_u32_f32_e32 v1, v1
	v_readfirstlane_b32 s17, v4
	v_readfirstlane_b32 s0, v1
	s_mul_i32 s1, s3, s17
	s_mul_hi_u32 s21, s3, s0
	s_mul_i32 s20, s15, s0
	s_add_i32 s1, s21, s1
	s_mul_i32 s22, s3, s0
	s_add_i32 s1, s1, s20
	s_mul_i32 s21, s0, s1
	s_mul_hi_u32 s23, s0, s22
	s_mul_hi_u32 s20, s0, s1
	s_add_u32 s21, s23, s21
	s_addc_u32 s20, 0, s20
	s_mul_hi_u32 s24, s17, s22
	s_mul_i32 s22, s17, s22
	s_add_u32 s21, s21, s22
	s_mul_hi_u32 s23, s17, s1
	s_addc_u32 s20, s20, s24
	s_addc_u32 s21, s23, 0
	s_mul_i32 s1, s17, s1
	s_add_u32 s1, s20, s1
	s_addc_u32 s20, 0, s21
	s_add_u32 s21, s0, s1
	s_cselect_b64 s[0:1], -1, 0
	s_cmp_lg_u64 s[0:1], 0
	s_addc_u32 s17, s17, s20
	s_mul_i32 s0, s3, s17
	s_mul_hi_u32 s1, s3, s21
	s_add_i32 s0, s1, s0
	s_mul_i32 s15, s15, s21
	s_add_i32 s0, s0, s15
	s_mul_i32 s3, s3, s21
	s_mul_hi_u32 s15, s17, s3
	s_mul_i32 s20, s17, s3
	s_mul_i32 s23, s21, s0
	s_mul_hi_u32 s3, s21, s3
	s_mul_hi_u32 s22, s21, s0
	s_add_u32 s3, s3, s23
	s_addc_u32 s22, 0, s22
	s_add_u32 s3, s3, s20
	s_mul_hi_u32 s1, s17, s0
	s_addc_u32 s3, s22, s15
	s_addc_u32 s1, s1, 0
	s_mul_i32 s0, s17, s0
	s_add_u32 s0, s3, s0
	s_addc_u32 s3, 0, s1
	s_add_u32 s15, s21, s0
	s_cselect_b64 s[0:1], -1, 0
	s_cmp_lg_u64 s[0:1], 0
	s_addc_u32 s3, s17, s3
	v_mad_u64_u32 v[4:5], s[0:1], v2, s3, 0
	v_mul_hi_u32 v1, v2, s15
	v_mad_u64_u32 v[6:7], s[0:1], v3, s3, 0
	v_add_co_u32_e32 v1, vcc, v1, v4
	v_addc_co_u32_e32 v8, vcc, 0, v5, vcc
	v_mad_u64_u32 v[4:5], s[0:1], v3, s15, 0
	v_add_co_u32_e32 v1, vcc, v1, v4
	v_addc_co_u32_e32 v1, vcc, v8, v5, vcc
	v_addc_co_u32_e32 v4, vcc, 0, v7, vcc
	v_add_co_u32_e32 v1, vcc, v1, v6
	v_addc_co_u32_e32 v4, vcc, 0, v4, vcc
	v_mul_lo_u32 v6, s13, v1
	v_mul_lo_u32 v7, s12, v4
	v_mad_u64_u32 v[4:5], s[0:1], s12, v1, 0
	v_add3_u32 v1, v5, v7, v6
	v_sub_u32_e32 v5, v3, v1
	v_mov_b32_e32 v6, s13
	v_sub_co_u32_e32 v4, vcc, v2, v4
	v_subb_co_u32_e64 v5, s[0:1], v5, v6, vcc
	v_subrev_co_u32_e64 v6, s[0:1], s12, v4
	v_subbrev_co_u32_e64 v5, s[0:1], 0, v5, s[0:1]
	v_cmp_le_u32_e64 s[0:1], s13, v5
	v_subb_co_u32_e32 v1, vcc, v3, v1, vcc
	v_cndmask_b32_e64 v7, 0, -1, s[0:1]
	v_cmp_le_u32_e64 s[0:1], s12, v6
	v_cmp_le_u32_e32 vcc, s13, v1
	v_cndmask_b32_e64 v8, 0, -1, s[0:1]
	v_cmp_eq_u32_e64 s[0:1], s13, v5
	v_cndmask_b32_e64 v3, 0, -1, vcc
	v_cmp_le_u32_e32 vcc, s12, v4
	v_cndmask_b32_e64 v5, v7, v8, s[0:1]
	v_cndmask_b32_e64 v8, 0, -1, vcc
	v_cmp_eq_u32_e32 vcc, s13, v1
	v_subrev_co_u32_e64 v7, s[0:1], s12, v6
	v_cndmask_b32_e32 v1, v3, v8, vcc
	v_cmp_ne_u32_e32 vcc, 0, v5
	v_cndmask_b32_e32 v3, v6, v7, vcc
	v_cmp_ne_u32_e32 vcc, 0, v1
	v_cndmask_b32_e32 v4, v4, v3, vcc
	s_andn2_saveexec_b64 s[0:1], s[6:7]
	s_cbranch_execz .LBB15_7
.LBB15_9:
	v_cvt_f32_u32_e32 v1, s12
	s_sub_i32 s3, 0, s12
	v_rcp_iflag_f32_e32 v1, v1
	v_mul_f32_e32 v1, 0x4f7ffffe, v1
	v_cvt_u32_f32_e32 v1, v1
	v_mul_lo_u32 v3, s3, v1
	v_mul_hi_u32 v3, v1, v3
	v_add_u32_e32 v1, v1, v3
	v_mul_hi_u32 v1, v2, v1
	v_mul_lo_u32 v1, v1, s12
	v_sub_u32_e32 v1, v2, v1
	v_subrev_u32_e32 v3, s12, v1
	v_cmp_le_u32_e32 vcc, s12, v1
	v_cndmask_b32_e32 v1, v1, v3, vcc
	v_subrev_u32_e32 v3, s12, v1
	v_cmp_le_u32_e32 vcc, s12, v1
	v_cndmask_b32_e32 v4, v1, v3, vcc
	s_or_b64 exec, exec, s[0:1]
	s_cmp_eq_u64 s[10:11], 0
	s_mov_b64 s[6:7], 0
	s_cbranch_scc1 .LBB15_16
.LBB15_10:
	v_mul_lo_u32 v1, v2, s16
	s_load_dword s0, s[4:5], 0x30
	v_mov_b32_e32 v9, s19
	v_sub_u32_e32 v1, v0, v1
	v_cvt_f32_i32_e32 v2, v1
	v_add_u32_e32 v1, 1, v1
	v_cvt_f32_i32_e32 v1, v1
	s_waitcnt lgkmcnt(0)
	v_fma_f32 v2, s0, v2, -0.5
	v_ceil_f32_e32 v2, v2
	v_fma_f32 v1, s0, v1, -0.5
	v_ceil_f32_e32 v1, v1
	v_cvt_i32_f32_e32 v1, v1
	v_cvt_i32_f32_e32 v5, v2
	v_min_i32_e32 v3, s14, v1
	v_min_i32_e32 v2, s14, v5
	v_cmp_gt_i32_e64 s[0:1], v3, v5
	s_branch .LBB15_12
.LBB15_11:                              ;   in Loop: Header=BB15_12 Depth=1
	s_or_b64 exec, exec, s[4:5]
	v_ashrrev_i32_e32 v1, 31, v0
	v_lshlrev_b64 v[7:8], 3, v[0:1]
	s_add_u32 s6, s6, 1
	v_add_co_u32_e32 v7, vcc, s18, v7
	v_addc_co_u32_e32 v8, vcc, v9, v8, vcc
	global_store_dwordx2 v[7:8], v[5:6], off
	s_addc_u32 s7, s7, 0
	v_mov_b32_e32 v5, s6
	v_mov_b32_e32 v6, s7
	v_cmp_le_u64_e32 vcc, s[10:11], v[5:6]
	v_add_u32_e32 v0, s2, v0
	s_cbranch_vccnz .LBB15_16
.LBB15_12:                              ; =>This Loop Header: Depth=1
                                        ;     Child Loop BB15_14 Depth 2
	v_mov_b32_e32 v5, 0
	v_mov_b32_e32 v6, 0
	s_and_saveexec_b64 s[4:5], s[0:1]
	s_cbranch_execz .LBB15_11
; %bb.13:                               ;   in Loop: Header=BB15_12 Depth=1
	s_mul_i32 s3, s6, s12
	v_add_u32_e32 v1, s3, v4
	v_mad_u64_u32 v[7:8], s[16:17], v1, s14, v[2:3]
	v_mov_b32_e32 v5, 0
	v_mov_b32_e32 v6, 0
	s_mov_b64 s[16:17], 0
	v_mov_b32_e32 v1, v2
.LBB15_14:                              ;   Parent Loop BB15_12 Depth=1
                                        ; =>  This Inner Loop Header: Depth=2
	v_ashrrev_i32_e32 v8, 31, v7
	v_lshlrev_b64 v[10:11], 3, v[7:8]
	v_mov_b32_e32 v12, s9
	v_add_co_u32_e32 v10, vcc, s8, v10
	v_addc_co_u32_e32 v11, vcc, v12, v11, vcc
	global_load_dwordx2 v[10:11], v[10:11], off
	v_add_u32_e32 v1, 1, v1
	v_cmp_ge_i32_e32 vcc, v1, v3
	v_add_u32_e32 v7, 1, v7
	s_or_b64 s[16:17], vcc, s[16:17]
	s_waitcnt vmcnt(0)
	v_add_f64 v[5:6], v[5:6], v[10:11]
	s_andn2_b64 exec, exec, s[16:17]
	s_cbranch_execnz .LBB15_14
; %bb.15:                               ;   in Loop: Header=BB15_12 Depth=1
	s_or_b64 exec, exec, s[16:17]
	s_branch .LBB15_11
.LBB15_16:
	s_endpgm
	.section	.rodata,"a",@progbits
	.p2align	6, 0x0
	.amdhsa_kernel _ZN2at6native12_GLOBAL__N_137upsample_nearest1d_backward_out_frameIddXadL_ZNS0_46nearest_neighbor_exact_bw_compute_source_indexEfiiEEEEvPKT_mmmmPS3_f
		.amdhsa_group_segment_fixed_size 0
		.amdhsa_private_segment_fixed_size 0
		.amdhsa_kernarg_size 312
		.amdhsa_user_sgpr_count 6
		.amdhsa_user_sgpr_private_segment_buffer 1
		.amdhsa_user_sgpr_dispatch_ptr 0
		.amdhsa_user_sgpr_queue_ptr 0
		.amdhsa_user_sgpr_kernarg_segment_ptr 1
		.amdhsa_user_sgpr_dispatch_id 0
		.amdhsa_user_sgpr_flat_scratch_init 0
		.amdhsa_user_sgpr_private_segment_size 0
		.amdhsa_uses_dynamic_stack 0
		.amdhsa_system_sgpr_private_segment_wavefront_offset 0
		.amdhsa_system_sgpr_workgroup_id_x 1
		.amdhsa_system_sgpr_workgroup_id_y 0
		.amdhsa_system_sgpr_workgroup_id_z 0
		.amdhsa_system_sgpr_workgroup_info 0
		.amdhsa_system_vgpr_workitem_id 0
		.amdhsa_next_free_vgpr 13
		.amdhsa_next_free_sgpr 26
		.amdhsa_reserve_vcc 1
		.amdhsa_reserve_flat_scratch 0
		.amdhsa_float_round_mode_32 0
		.amdhsa_float_round_mode_16_64 0
		.amdhsa_float_denorm_mode_32 3
		.amdhsa_float_denorm_mode_16_64 3
		.amdhsa_dx10_clamp 1
		.amdhsa_ieee_mode 1
		.amdhsa_fp16_overflow 0
		.amdhsa_exception_fp_ieee_invalid_op 0
		.amdhsa_exception_fp_denorm_src 0
		.amdhsa_exception_fp_ieee_div_zero 0
		.amdhsa_exception_fp_ieee_overflow 0
		.amdhsa_exception_fp_ieee_underflow 0
		.amdhsa_exception_fp_ieee_inexact 0
		.amdhsa_exception_int_div_zero 0
	.end_amdhsa_kernel
	.section	.text._ZN2at6native12_GLOBAL__N_137upsample_nearest1d_backward_out_frameIddXadL_ZNS0_46nearest_neighbor_exact_bw_compute_source_indexEfiiEEEEvPKT_mmmmPS3_f,"axG",@progbits,_ZN2at6native12_GLOBAL__N_137upsample_nearest1d_backward_out_frameIddXadL_ZNS0_46nearest_neighbor_exact_bw_compute_source_indexEfiiEEEEvPKT_mmmmPS3_f,comdat
.Lfunc_end15:
	.size	_ZN2at6native12_GLOBAL__N_137upsample_nearest1d_backward_out_frameIddXadL_ZNS0_46nearest_neighbor_exact_bw_compute_source_indexEfiiEEEEvPKT_mmmmPS3_f, .Lfunc_end15-_ZN2at6native12_GLOBAL__N_137upsample_nearest1d_backward_out_frameIddXadL_ZNS0_46nearest_neighbor_exact_bw_compute_source_indexEfiiEEEEvPKT_mmmmPS3_f
                                        ; -- End function
	.set _ZN2at6native12_GLOBAL__N_137upsample_nearest1d_backward_out_frameIddXadL_ZNS0_46nearest_neighbor_exact_bw_compute_source_indexEfiiEEEEvPKT_mmmmPS3_f.num_vgpr, 13
	.set _ZN2at6native12_GLOBAL__N_137upsample_nearest1d_backward_out_frameIddXadL_ZNS0_46nearest_neighbor_exact_bw_compute_source_indexEfiiEEEEvPKT_mmmmPS3_f.num_agpr, 0
	.set _ZN2at6native12_GLOBAL__N_137upsample_nearest1d_backward_out_frameIddXadL_ZNS0_46nearest_neighbor_exact_bw_compute_source_indexEfiiEEEEvPKT_mmmmPS3_f.numbered_sgpr, 26
	.set _ZN2at6native12_GLOBAL__N_137upsample_nearest1d_backward_out_frameIddXadL_ZNS0_46nearest_neighbor_exact_bw_compute_source_indexEfiiEEEEvPKT_mmmmPS3_f.num_named_barrier, 0
	.set _ZN2at6native12_GLOBAL__N_137upsample_nearest1d_backward_out_frameIddXadL_ZNS0_46nearest_neighbor_exact_bw_compute_source_indexEfiiEEEEvPKT_mmmmPS3_f.private_seg_size, 0
	.set _ZN2at6native12_GLOBAL__N_137upsample_nearest1d_backward_out_frameIddXadL_ZNS0_46nearest_neighbor_exact_bw_compute_source_indexEfiiEEEEvPKT_mmmmPS3_f.uses_vcc, 1
	.set _ZN2at6native12_GLOBAL__N_137upsample_nearest1d_backward_out_frameIddXadL_ZNS0_46nearest_neighbor_exact_bw_compute_source_indexEfiiEEEEvPKT_mmmmPS3_f.uses_flat_scratch, 0
	.set _ZN2at6native12_GLOBAL__N_137upsample_nearest1d_backward_out_frameIddXadL_ZNS0_46nearest_neighbor_exact_bw_compute_source_indexEfiiEEEEvPKT_mmmmPS3_f.has_dyn_sized_stack, 0
	.set _ZN2at6native12_GLOBAL__N_137upsample_nearest1d_backward_out_frameIddXadL_ZNS0_46nearest_neighbor_exact_bw_compute_source_indexEfiiEEEEvPKT_mmmmPS3_f.has_recursion, 0
	.set _ZN2at6native12_GLOBAL__N_137upsample_nearest1d_backward_out_frameIddXadL_ZNS0_46nearest_neighbor_exact_bw_compute_source_indexEfiiEEEEvPKT_mmmmPS3_f.has_indirect_call, 0
	.section	.AMDGPU.csdata,"",@progbits
; Kernel info:
; codeLenInByte = 1724
; TotalNumSgprs: 30
; NumVgprs: 13
; ScratchSize: 0
; MemoryBound: 0
; FloatMode: 240
; IeeeMode: 1
; LDSByteSize: 0 bytes/workgroup (compile time only)
; SGPRBlocks: 3
; VGPRBlocks: 3
; NumSGPRsForWavesPerEU: 30
; NumVGPRsForWavesPerEU: 13
; Occupancy: 10
; WaveLimiterHint : 0
; COMPUTE_PGM_RSRC2:SCRATCH_EN: 0
; COMPUTE_PGM_RSRC2:USER_SGPR: 6
; COMPUTE_PGM_RSRC2:TRAP_HANDLER: 0
; COMPUTE_PGM_RSRC2:TGID_X_EN: 1
; COMPUTE_PGM_RSRC2:TGID_Y_EN: 0
; COMPUTE_PGM_RSRC2:TGID_Z_EN: 0
; COMPUTE_PGM_RSRC2:TIDIG_COMP_CNT: 0
	.section	.text._ZN2at6native12_GLOBAL__N_137upsample_nearest1d_backward_out_frameIffXadL_ZNS0_46nearest_neighbor_exact_bw_compute_source_indexEfiiEEEEvPKT_mmmmPS3_f,"axG",@progbits,_ZN2at6native12_GLOBAL__N_137upsample_nearest1d_backward_out_frameIffXadL_ZNS0_46nearest_neighbor_exact_bw_compute_source_indexEfiiEEEEvPKT_mmmmPS3_f,comdat
	.globl	_ZN2at6native12_GLOBAL__N_137upsample_nearest1d_backward_out_frameIffXadL_ZNS0_46nearest_neighbor_exact_bw_compute_source_indexEfiiEEEEvPKT_mmmmPS3_f ; -- Begin function _ZN2at6native12_GLOBAL__N_137upsample_nearest1d_backward_out_frameIffXadL_ZNS0_46nearest_neighbor_exact_bw_compute_source_indexEfiiEEEEvPKT_mmmmPS3_f
	.p2align	8
	.type	_ZN2at6native12_GLOBAL__N_137upsample_nearest1d_backward_out_frameIffXadL_ZNS0_46nearest_neighbor_exact_bw_compute_source_indexEfiiEEEEvPKT_mmmmPS3_f,@function
_ZN2at6native12_GLOBAL__N_137upsample_nearest1d_backward_out_frameIffXadL_ZNS0_46nearest_neighbor_exact_bw_compute_source_indexEfiiEEEEvPKT_mmmmPS3_f: ; @_ZN2at6native12_GLOBAL__N_137upsample_nearest1d_backward_out_frameIffXadL_ZNS0_46nearest_neighbor_exact_bw_compute_source_indexEfiiEEEEvPKT_mmmmPS3_f
; %bb.0:
	s_load_dword s0, s[4:5], 0x44
	s_load_dwordx4 s[16:19], s[4:5], 0x20
	s_load_dwordx8 s[8:15], s[4:5], 0x0
	s_waitcnt lgkmcnt(0)
	s_and_b32 s0, s0, 0xffff
	s_mul_i32 s6, s6, s0
	s_mul_i32 s0, s16, s13
	s_mul_hi_u32 s1, s16, s12
	v_add_u32_e32 v0, s6, v0
	s_add_i32 s0, s1, s0
	s_mul_i32 s1, s17, s12
	v_ashrrev_i32_e32 v1, 31, v0
	s_add_i32 s3, s0, s1
	s_mul_i32 s2, s16, s12
	v_cmp_gt_u64_e32 vcc, s[2:3], v[0:1]
	s_and_saveexec_b64 s[0:1], vcc
	s_cbranch_execz .LBB16_16
; %bb.1:
	v_or_b32_e32 v3, s17, v1
	v_mov_b32_e32 v2, 0
	v_cmp_ne_u64_e32 vcc, 0, v[2:3]
                                        ; implicit-def: $vgpr2_vgpr3
	s_and_saveexec_b64 s[0:1], vcc
	s_xor_b64 s[6:7], exec, s[0:1]
	s_cbranch_execz .LBB16_3
; %bb.2:
	v_cvt_f32_u32_e32 v2, s16
	v_cvt_f32_u32_e32 v3, s17
	s_sub_u32 s3, 0, s16
	s_subb_u32 s15, 0, s17
	v_madmk_f32 v2, v3, 0x4f800000, v2
	v_rcp_f32_e32 v2, v2
	v_mul_f32_e32 v2, 0x5f7ffffc, v2
	v_mul_f32_e32 v3, 0x2f800000, v2
	v_trunc_f32_e32 v3, v3
	v_madmk_f32 v2, v3, 0xcf800000, v2
	v_cvt_u32_f32_e32 v3, v3
	v_cvt_u32_f32_e32 v2, v2
	v_readfirstlane_b32 s20, v3
	v_readfirstlane_b32 s0, v2
	s_mul_i32 s1, s3, s20
	s_mul_hi_u32 s22, s3, s0
	s_mul_i32 s21, s15, s0
	s_add_i32 s1, s22, s1
	s_mul_i32 s23, s3, s0
	s_add_i32 s1, s1, s21
	s_mul_i32 s22, s0, s1
	s_mul_hi_u32 s24, s0, s23
	s_mul_hi_u32 s21, s0, s1
	s_add_u32 s22, s24, s22
	s_addc_u32 s21, 0, s21
	s_mul_hi_u32 s25, s20, s23
	s_mul_i32 s23, s20, s23
	s_add_u32 s22, s22, s23
	s_mul_hi_u32 s24, s20, s1
	s_addc_u32 s21, s21, s25
	s_addc_u32 s22, s24, 0
	s_mul_i32 s1, s20, s1
	s_add_u32 s1, s21, s1
	s_addc_u32 s21, 0, s22
	s_add_u32 s22, s0, s1
	s_cselect_b64 s[0:1], -1, 0
	s_cmp_lg_u64 s[0:1], 0
	s_addc_u32 s20, s20, s21
	s_mul_i32 s0, s3, s20
	s_mul_hi_u32 s1, s3, s22
	s_add_i32 s0, s1, s0
	s_mul_i32 s15, s15, s22
	s_add_i32 s0, s0, s15
	s_mul_i32 s3, s3, s22
	s_mul_hi_u32 s15, s20, s3
	s_mul_i32 s21, s20, s3
	s_mul_i32 s24, s22, s0
	s_mul_hi_u32 s3, s22, s3
	s_mul_hi_u32 s23, s22, s0
	s_add_u32 s3, s3, s24
	s_addc_u32 s23, 0, s23
	s_add_u32 s3, s3, s21
	s_mul_hi_u32 s1, s20, s0
	s_addc_u32 s3, s23, s15
	s_addc_u32 s1, s1, 0
	s_mul_i32 s0, s20, s0
	s_add_u32 s0, s3, s0
	s_addc_u32 s3, 0, s1
	s_add_u32 s15, s22, s0
	s_cselect_b64 s[0:1], -1, 0
	s_cmp_lg_u64 s[0:1], 0
	s_addc_u32 s3, s20, s3
	v_mad_u64_u32 v[2:3], s[0:1], v0, s3, 0
	v_mul_hi_u32 v4, v0, s15
	v_add_co_u32_e32 v6, vcc, v4, v2
	v_addc_co_u32_e32 v7, vcc, 0, v3, vcc
	v_mad_u64_u32 v[2:3], s[0:1], v1, s15, 0
	v_mad_u64_u32 v[4:5], s[0:1], v1, s3, 0
	v_add_co_u32_e32 v2, vcc, v6, v2
	v_addc_co_u32_e32 v2, vcc, v7, v3, vcc
	v_addc_co_u32_e32 v3, vcc, 0, v5, vcc
	v_add_co_u32_e32 v4, vcc, v2, v4
	v_addc_co_u32_e32 v5, vcc, 0, v3, vcc
	v_mul_lo_u32 v6, s17, v4
	v_mul_lo_u32 v7, s16, v5
	v_mad_u64_u32 v[2:3], s[0:1], s16, v4, 0
	v_add3_u32 v3, v3, v7, v6
	v_sub_u32_e32 v6, v1, v3
	v_mov_b32_e32 v7, s17
	v_sub_co_u32_e32 v2, vcc, v0, v2
	v_subb_co_u32_e64 v6, s[0:1], v6, v7, vcc
	v_subrev_co_u32_e64 v7, s[0:1], s16, v2
	v_subbrev_co_u32_e64 v6, s[0:1], 0, v6, s[0:1]
	v_cmp_le_u32_e64 s[0:1], s17, v6
	v_cndmask_b32_e64 v8, 0, -1, s[0:1]
	v_cmp_le_u32_e64 s[0:1], s16, v7
	v_cndmask_b32_e64 v7, 0, -1, s[0:1]
	v_cmp_eq_u32_e64 s[0:1], s17, v6
	v_cndmask_b32_e64 v6, v8, v7, s[0:1]
	v_add_co_u32_e64 v7, s[0:1], 2, v4
	v_subb_co_u32_e32 v1, vcc, v1, v3, vcc
	v_addc_co_u32_e64 v8, s[0:1], 0, v5, s[0:1]
	v_cmp_le_u32_e32 vcc, s17, v1
	v_add_co_u32_e64 v9, s[0:1], 1, v4
	v_cndmask_b32_e64 v3, 0, -1, vcc
	v_cmp_le_u32_e32 vcc, s16, v2
	v_addc_co_u32_e64 v10, s[0:1], 0, v5, s[0:1]
	v_cndmask_b32_e64 v2, 0, -1, vcc
	v_cmp_eq_u32_e32 vcc, s17, v1
	v_cmp_ne_u32_e64 s[0:1], 0, v6
	v_cndmask_b32_e32 v1, v3, v2, vcc
	v_cndmask_b32_e64 v6, v10, v8, s[0:1]
	v_cmp_ne_u32_e32 vcc, 0, v1
	v_cndmask_b32_e64 v1, v9, v7, s[0:1]
	v_cndmask_b32_e32 v3, v5, v6, vcc
	v_cndmask_b32_e32 v2, v4, v1, vcc
.LBB16_3:
	s_andn2_saveexec_b64 s[0:1], s[6:7]
	s_cbranch_execz .LBB16_5
; %bb.4:
	v_cvt_f32_u32_e32 v1, s16
	s_sub_i32 s3, 0, s16
	v_rcp_iflag_f32_e32 v1, v1
	v_mul_f32_e32 v1, 0x4f7ffffe, v1
	v_cvt_u32_f32_e32 v1, v1
	v_mul_lo_u32 v2, s3, v1
	v_mul_hi_u32 v2, v1, v2
	v_add_u32_e32 v1, v1, v2
	v_mul_hi_u32 v1, v0, v1
	v_mul_lo_u32 v2, v1, s16
	v_add_u32_e32 v3, 1, v1
	v_sub_u32_e32 v2, v0, v2
	v_subrev_u32_e32 v4, s16, v2
	v_cmp_le_u32_e32 vcc, s16, v2
	v_cndmask_b32_e32 v2, v2, v4, vcc
	v_cndmask_b32_e32 v1, v1, v3, vcc
	v_add_u32_e32 v3, 1, v1
	v_cmp_le_u32_e32 vcc, s16, v2
	v_cndmask_b32_e32 v2, v1, v3, vcc
	v_mov_b32_e32 v3, 0
.LBB16_5:
	s_or_b64 exec, exec, s[0:1]
	v_or_b32_e32 v5, s13, v3
	v_mov_b32_e32 v4, 0
	v_cmp_ne_u64_e32 vcc, 0, v[4:5]
                                        ; implicit-def: $vgpr4_vgpr5
	s_and_saveexec_b64 s[0:1], vcc
	s_xor_b64 s[6:7], exec, s[0:1]
	s_cbranch_execnz .LBB16_8
; %bb.6:
	s_andn2_saveexec_b64 s[0:1], s[6:7]
	s_cbranch_execnz .LBB16_9
.LBB16_7:
	s_or_b64 exec, exec, s[0:1]
	s_cmp_eq_u64 s[10:11], 0
	s_mov_b64 s[6:7], 0
	s_cbranch_scc0 .LBB16_10
	s_branch .LBB16_16
.LBB16_8:
	v_cvt_f32_u32_e32 v1, s12
	v_cvt_f32_u32_e32 v4, s13
	s_sub_u32 s3, 0, s12
	s_subb_u32 s15, 0, s13
	v_madmk_f32 v1, v4, 0x4f800000, v1
	v_rcp_f32_e32 v1, v1
	v_mul_f32_e32 v1, 0x5f7ffffc, v1
	v_mul_f32_e32 v4, 0x2f800000, v1
	v_trunc_f32_e32 v4, v4
	v_madmk_f32 v1, v4, 0xcf800000, v1
	v_cvt_u32_f32_e32 v4, v4
	v_cvt_u32_f32_e32 v1, v1
	v_readfirstlane_b32 s17, v4
	v_readfirstlane_b32 s0, v1
	s_mul_i32 s1, s3, s17
	s_mul_hi_u32 s21, s3, s0
	s_mul_i32 s20, s15, s0
	s_add_i32 s1, s21, s1
	s_mul_i32 s22, s3, s0
	s_add_i32 s1, s1, s20
	s_mul_i32 s21, s0, s1
	s_mul_hi_u32 s23, s0, s22
	s_mul_hi_u32 s20, s0, s1
	s_add_u32 s21, s23, s21
	s_addc_u32 s20, 0, s20
	s_mul_hi_u32 s24, s17, s22
	s_mul_i32 s22, s17, s22
	s_add_u32 s21, s21, s22
	s_mul_hi_u32 s23, s17, s1
	s_addc_u32 s20, s20, s24
	s_addc_u32 s21, s23, 0
	s_mul_i32 s1, s17, s1
	s_add_u32 s1, s20, s1
	s_addc_u32 s20, 0, s21
	s_add_u32 s21, s0, s1
	s_cselect_b64 s[0:1], -1, 0
	s_cmp_lg_u64 s[0:1], 0
	s_addc_u32 s17, s17, s20
	s_mul_i32 s0, s3, s17
	s_mul_hi_u32 s1, s3, s21
	s_add_i32 s0, s1, s0
	s_mul_i32 s15, s15, s21
	s_add_i32 s0, s0, s15
	s_mul_i32 s3, s3, s21
	s_mul_hi_u32 s15, s17, s3
	s_mul_i32 s20, s17, s3
	s_mul_i32 s23, s21, s0
	s_mul_hi_u32 s3, s21, s3
	s_mul_hi_u32 s22, s21, s0
	s_add_u32 s3, s3, s23
	s_addc_u32 s22, 0, s22
	s_add_u32 s3, s3, s20
	s_mul_hi_u32 s1, s17, s0
	s_addc_u32 s3, s22, s15
	s_addc_u32 s1, s1, 0
	s_mul_i32 s0, s17, s0
	s_add_u32 s0, s3, s0
	s_addc_u32 s3, 0, s1
	s_add_u32 s15, s21, s0
	s_cselect_b64 s[0:1], -1, 0
	s_cmp_lg_u64 s[0:1], 0
	s_addc_u32 s3, s17, s3
	v_mad_u64_u32 v[4:5], s[0:1], v2, s3, 0
	v_mul_hi_u32 v1, v2, s15
	v_mad_u64_u32 v[6:7], s[0:1], v3, s3, 0
	v_add_co_u32_e32 v1, vcc, v1, v4
	v_addc_co_u32_e32 v8, vcc, 0, v5, vcc
	v_mad_u64_u32 v[4:5], s[0:1], v3, s15, 0
	v_add_co_u32_e32 v1, vcc, v1, v4
	v_addc_co_u32_e32 v1, vcc, v8, v5, vcc
	v_addc_co_u32_e32 v4, vcc, 0, v7, vcc
	v_add_co_u32_e32 v1, vcc, v1, v6
	v_addc_co_u32_e32 v4, vcc, 0, v4, vcc
	v_mul_lo_u32 v6, s13, v1
	v_mul_lo_u32 v7, s12, v4
	v_mad_u64_u32 v[4:5], s[0:1], s12, v1, 0
	v_add3_u32 v1, v5, v7, v6
	v_sub_u32_e32 v5, v3, v1
	v_mov_b32_e32 v6, s13
	v_sub_co_u32_e32 v4, vcc, v2, v4
	v_subb_co_u32_e64 v5, s[0:1], v5, v6, vcc
	v_subrev_co_u32_e64 v6, s[0:1], s12, v4
	v_subbrev_co_u32_e64 v5, s[0:1], 0, v5, s[0:1]
	v_cmp_le_u32_e64 s[0:1], s13, v5
	v_subb_co_u32_e32 v1, vcc, v3, v1, vcc
	v_cndmask_b32_e64 v7, 0, -1, s[0:1]
	v_cmp_le_u32_e64 s[0:1], s12, v6
	v_cmp_le_u32_e32 vcc, s13, v1
	v_cndmask_b32_e64 v8, 0, -1, s[0:1]
	v_cmp_eq_u32_e64 s[0:1], s13, v5
	v_cndmask_b32_e64 v3, 0, -1, vcc
	v_cmp_le_u32_e32 vcc, s12, v4
	v_cndmask_b32_e64 v5, v7, v8, s[0:1]
	v_cndmask_b32_e64 v8, 0, -1, vcc
	v_cmp_eq_u32_e32 vcc, s13, v1
	v_subrev_co_u32_e64 v7, s[0:1], s12, v6
	v_cndmask_b32_e32 v1, v3, v8, vcc
	v_cmp_ne_u32_e32 vcc, 0, v5
	v_cndmask_b32_e32 v3, v6, v7, vcc
	v_cmp_ne_u32_e32 vcc, 0, v1
	v_cndmask_b32_e32 v4, v4, v3, vcc
	s_andn2_saveexec_b64 s[0:1], s[6:7]
	s_cbranch_execz .LBB16_7
.LBB16_9:
	v_cvt_f32_u32_e32 v1, s12
	s_sub_i32 s3, 0, s12
	v_rcp_iflag_f32_e32 v1, v1
	v_mul_f32_e32 v1, 0x4f7ffffe, v1
	v_cvt_u32_f32_e32 v1, v1
	v_mul_lo_u32 v3, s3, v1
	v_mul_hi_u32 v3, v1, v3
	v_add_u32_e32 v1, v1, v3
	v_mul_hi_u32 v1, v2, v1
	v_mul_lo_u32 v1, v1, s12
	v_sub_u32_e32 v1, v2, v1
	v_subrev_u32_e32 v3, s12, v1
	v_cmp_le_u32_e32 vcc, s12, v1
	v_cndmask_b32_e32 v1, v1, v3, vcc
	v_subrev_u32_e32 v3, s12, v1
	v_cmp_le_u32_e32 vcc, s12, v1
	v_cndmask_b32_e32 v4, v1, v3, vcc
	s_or_b64 exec, exec, s[0:1]
	s_cmp_eq_u64 s[10:11], 0
	s_mov_b64 s[6:7], 0
	s_cbranch_scc1 .LBB16_16
.LBB16_10:
	v_mul_lo_u32 v1, v2, s16
	s_load_dword s0, s[4:5], 0x30
	v_mov_b32_e32 v7, s19
	v_sub_u32_e32 v1, v0, v1
	v_cvt_f32_i32_e32 v2, v1
	v_add_u32_e32 v1, 1, v1
	v_cvt_f32_i32_e32 v1, v1
	s_waitcnt lgkmcnt(0)
	v_fma_f32 v2, s0, v2, -0.5
	v_ceil_f32_e32 v2, v2
	v_fma_f32 v1, s0, v1, -0.5
	v_ceil_f32_e32 v1, v1
	v_cvt_i32_f32_e32 v1, v1
	v_cvt_i32_f32_e32 v5, v2
	v_min_i32_e32 v3, s14, v1
	v_min_i32_e32 v2, s14, v5
	v_cmp_gt_i32_e64 s[0:1], v3, v5
	s_branch .LBB16_12
.LBB16_11:                              ;   in Loop: Header=BB16_12 Depth=1
	s_or_b64 exec, exec, s[4:5]
	v_ashrrev_i32_e32 v1, 31, v0
	v_lshlrev_b64 v[5:6], 2, v[0:1]
	s_add_u32 s6, s6, 1
	v_add_co_u32_e32 v5, vcc, s18, v5
	v_addc_co_u32_e32 v6, vcc, v7, v6, vcc
	global_store_dword v[5:6], v8, off
	s_addc_u32 s7, s7, 0
	v_mov_b32_e32 v5, s6
	v_mov_b32_e32 v6, s7
	v_cmp_le_u64_e32 vcc, s[10:11], v[5:6]
	v_add_u32_e32 v0, s2, v0
	s_cbranch_vccnz .LBB16_16
.LBB16_12:                              ; =>This Loop Header: Depth=1
                                        ;     Child Loop BB16_14 Depth 2
	v_mov_b32_e32 v8, 0
	s_and_saveexec_b64 s[4:5], s[0:1]
	s_cbranch_execz .LBB16_11
; %bb.13:                               ;   in Loop: Header=BB16_12 Depth=1
	s_mul_i32 s3, s6, s12
	v_add_u32_e32 v1, s3, v4
	v_mad_u64_u32 v[5:6], s[16:17], v1, s14, v[2:3]
	v_mov_b32_e32 v8, 0
	s_mov_b64 s[16:17], 0
	v_mov_b32_e32 v1, v2
.LBB16_14:                              ;   Parent Loop BB16_12 Depth=1
                                        ; =>  This Inner Loop Header: Depth=2
	v_ashrrev_i32_e32 v6, 31, v5
	v_lshlrev_b64 v[9:10], 2, v[5:6]
	v_mov_b32_e32 v11, s9
	v_add_co_u32_e32 v9, vcc, s8, v9
	v_addc_co_u32_e32 v10, vcc, v11, v10, vcc
	global_load_dword v6, v[9:10], off
	v_add_u32_e32 v1, 1, v1
	v_cmp_ge_i32_e32 vcc, v1, v3
	v_add_u32_e32 v5, 1, v5
	s_or_b64 s[16:17], vcc, s[16:17]
	s_waitcnt vmcnt(0)
	v_add_f32_e32 v8, v8, v6
	s_andn2_b64 exec, exec, s[16:17]
	s_cbranch_execnz .LBB16_14
; %bb.15:                               ;   in Loop: Header=BB16_12 Depth=1
	s_or_b64 exec, exec, s[16:17]
	s_branch .LBB16_11
.LBB16_16:
	s_endpgm
	.section	.rodata,"a",@progbits
	.p2align	6, 0x0
	.amdhsa_kernel _ZN2at6native12_GLOBAL__N_137upsample_nearest1d_backward_out_frameIffXadL_ZNS0_46nearest_neighbor_exact_bw_compute_source_indexEfiiEEEEvPKT_mmmmPS3_f
		.amdhsa_group_segment_fixed_size 0
		.amdhsa_private_segment_fixed_size 0
		.amdhsa_kernarg_size 312
		.amdhsa_user_sgpr_count 6
		.amdhsa_user_sgpr_private_segment_buffer 1
		.amdhsa_user_sgpr_dispatch_ptr 0
		.amdhsa_user_sgpr_queue_ptr 0
		.amdhsa_user_sgpr_kernarg_segment_ptr 1
		.amdhsa_user_sgpr_dispatch_id 0
		.amdhsa_user_sgpr_flat_scratch_init 0
		.amdhsa_user_sgpr_private_segment_size 0
		.amdhsa_uses_dynamic_stack 0
		.amdhsa_system_sgpr_private_segment_wavefront_offset 0
		.amdhsa_system_sgpr_workgroup_id_x 1
		.amdhsa_system_sgpr_workgroup_id_y 0
		.amdhsa_system_sgpr_workgroup_id_z 0
		.amdhsa_system_sgpr_workgroup_info 0
		.amdhsa_system_vgpr_workitem_id 0
		.amdhsa_next_free_vgpr 12
		.amdhsa_next_free_sgpr 26
		.amdhsa_reserve_vcc 1
		.amdhsa_reserve_flat_scratch 0
		.amdhsa_float_round_mode_32 0
		.amdhsa_float_round_mode_16_64 0
		.amdhsa_float_denorm_mode_32 3
		.amdhsa_float_denorm_mode_16_64 3
		.amdhsa_dx10_clamp 1
		.amdhsa_ieee_mode 1
		.amdhsa_fp16_overflow 0
		.amdhsa_exception_fp_ieee_invalid_op 0
		.amdhsa_exception_fp_denorm_src 0
		.amdhsa_exception_fp_ieee_div_zero 0
		.amdhsa_exception_fp_ieee_overflow 0
		.amdhsa_exception_fp_ieee_underflow 0
		.amdhsa_exception_fp_ieee_inexact 0
		.amdhsa_exception_int_div_zero 0
	.end_amdhsa_kernel
	.section	.text._ZN2at6native12_GLOBAL__N_137upsample_nearest1d_backward_out_frameIffXadL_ZNS0_46nearest_neighbor_exact_bw_compute_source_indexEfiiEEEEvPKT_mmmmPS3_f,"axG",@progbits,_ZN2at6native12_GLOBAL__N_137upsample_nearest1d_backward_out_frameIffXadL_ZNS0_46nearest_neighbor_exact_bw_compute_source_indexEfiiEEEEvPKT_mmmmPS3_f,comdat
.Lfunc_end16:
	.size	_ZN2at6native12_GLOBAL__N_137upsample_nearest1d_backward_out_frameIffXadL_ZNS0_46nearest_neighbor_exact_bw_compute_source_indexEfiiEEEEvPKT_mmmmPS3_f, .Lfunc_end16-_ZN2at6native12_GLOBAL__N_137upsample_nearest1d_backward_out_frameIffXadL_ZNS0_46nearest_neighbor_exact_bw_compute_source_indexEfiiEEEEvPKT_mmmmPS3_f
                                        ; -- End function
	.set _ZN2at6native12_GLOBAL__N_137upsample_nearest1d_backward_out_frameIffXadL_ZNS0_46nearest_neighbor_exact_bw_compute_source_indexEfiiEEEEvPKT_mmmmPS3_f.num_vgpr, 12
	.set _ZN2at6native12_GLOBAL__N_137upsample_nearest1d_backward_out_frameIffXadL_ZNS0_46nearest_neighbor_exact_bw_compute_source_indexEfiiEEEEvPKT_mmmmPS3_f.num_agpr, 0
	.set _ZN2at6native12_GLOBAL__N_137upsample_nearest1d_backward_out_frameIffXadL_ZNS0_46nearest_neighbor_exact_bw_compute_source_indexEfiiEEEEvPKT_mmmmPS3_f.numbered_sgpr, 26
	.set _ZN2at6native12_GLOBAL__N_137upsample_nearest1d_backward_out_frameIffXadL_ZNS0_46nearest_neighbor_exact_bw_compute_source_indexEfiiEEEEvPKT_mmmmPS3_f.num_named_barrier, 0
	.set _ZN2at6native12_GLOBAL__N_137upsample_nearest1d_backward_out_frameIffXadL_ZNS0_46nearest_neighbor_exact_bw_compute_source_indexEfiiEEEEvPKT_mmmmPS3_f.private_seg_size, 0
	.set _ZN2at6native12_GLOBAL__N_137upsample_nearest1d_backward_out_frameIffXadL_ZNS0_46nearest_neighbor_exact_bw_compute_source_indexEfiiEEEEvPKT_mmmmPS3_f.uses_vcc, 1
	.set _ZN2at6native12_GLOBAL__N_137upsample_nearest1d_backward_out_frameIffXadL_ZNS0_46nearest_neighbor_exact_bw_compute_source_indexEfiiEEEEvPKT_mmmmPS3_f.uses_flat_scratch, 0
	.set _ZN2at6native12_GLOBAL__N_137upsample_nearest1d_backward_out_frameIffXadL_ZNS0_46nearest_neighbor_exact_bw_compute_source_indexEfiiEEEEvPKT_mmmmPS3_f.has_dyn_sized_stack, 0
	.set _ZN2at6native12_GLOBAL__N_137upsample_nearest1d_backward_out_frameIffXadL_ZNS0_46nearest_neighbor_exact_bw_compute_source_indexEfiiEEEEvPKT_mmmmPS3_f.has_recursion, 0
	.set _ZN2at6native12_GLOBAL__N_137upsample_nearest1d_backward_out_frameIffXadL_ZNS0_46nearest_neighbor_exact_bw_compute_source_indexEfiiEEEEvPKT_mmmmPS3_f.has_indirect_call, 0
	.section	.AMDGPU.csdata,"",@progbits
; Kernel info:
; codeLenInByte = 1712
; TotalNumSgprs: 30
; NumVgprs: 12
; ScratchSize: 0
; MemoryBound: 0
; FloatMode: 240
; IeeeMode: 1
; LDSByteSize: 0 bytes/workgroup (compile time only)
; SGPRBlocks: 3
; VGPRBlocks: 2
; NumSGPRsForWavesPerEU: 30
; NumVGPRsForWavesPerEU: 12
; Occupancy: 10
; WaveLimiterHint : 0
; COMPUTE_PGM_RSRC2:SCRATCH_EN: 0
; COMPUTE_PGM_RSRC2:USER_SGPR: 6
; COMPUTE_PGM_RSRC2:TRAP_HANDLER: 0
; COMPUTE_PGM_RSRC2:TGID_X_EN: 1
; COMPUTE_PGM_RSRC2:TGID_Y_EN: 0
; COMPUTE_PGM_RSRC2:TGID_Z_EN: 0
; COMPUTE_PGM_RSRC2:TIDIG_COMP_CNT: 0
	.section	.text._ZN2at6native12_GLOBAL__N_137upsample_nearest1d_backward_out_frameIN3c104HalfEfXadL_ZNS0_46nearest_neighbor_exact_bw_compute_source_indexEfiiEEEEvPKT_mmmmPS5_f,"axG",@progbits,_ZN2at6native12_GLOBAL__N_137upsample_nearest1d_backward_out_frameIN3c104HalfEfXadL_ZNS0_46nearest_neighbor_exact_bw_compute_source_indexEfiiEEEEvPKT_mmmmPS5_f,comdat
	.globl	_ZN2at6native12_GLOBAL__N_137upsample_nearest1d_backward_out_frameIN3c104HalfEfXadL_ZNS0_46nearest_neighbor_exact_bw_compute_source_indexEfiiEEEEvPKT_mmmmPS5_f ; -- Begin function _ZN2at6native12_GLOBAL__N_137upsample_nearest1d_backward_out_frameIN3c104HalfEfXadL_ZNS0_46nearest_neighbor_exact_bw_compute_source_indexEfiiEEEEvPKT_mmmmPS5_f
	.p2align	8
	.type	_ZN2at6native12_GLOBAL__N_137upsample_nearest1d_backward_out_frameIN3c104HalfEfXadL_ZNS0_46nearest_neighbor_exact_bw_compute_source_indexEfiiEEEEvPKT_mmmmPS5_f,@function
_ZN2at6native12_GLOBAL__N_137upsample_nearest1d_backward_out_frameIN3c104HalfEfXadL_ZNS0_46nearest_neighbor_exact_bw_compute_source_indexEfiiEEEEvPKT_mmmmPS5_f: ; @_ZN2at6native12_GLOBAL__N_137upsample_nearest1d_backward_out_frameIN3c104HalfEfXadL_ZNS0_46nearest_neighbor_exact_bw_compute_source_indexEfiiEEEEvPKT_mmmmPS5_f
; %bb.0:
	s_load_dword s0, s[4:5], 0x44
	s_load_dwordx4 s[16:19], s[4:5], 0x20
	s_load_dwordx8 s[8:15], s[4:5], 0x0
	s_waitcnt lgkmcnt(0)
	s_and_b32 s0, s0, 0xffff
	s_mul_i32 s6, s6, s0
	s_mul_i32 s0, s16, s13
	s_mul_hi_u32 s1, s16, s12
	v_add_u32_e32 v0, s6, v0
	s_add_i32 s0, s1, s0
	s_mul_i32 s1, s17, s12
	v_ashrrev_i32_e32 v1, 31, v0
	s_add_i32 s3, s0, s1
	s_mul_i32 s2, s16, s12
	v_cmp_gt_u64_e32 vcc, s[2:3], v[0:1]
	s_and_saveexec_b64 s[0:1], vcc
	s_cbranch_execz .LBB17_16
; %bb.1:
	v_or_b32_e32 v3, s17, v1
	v_mov_b32_e32 v2, 0
	v_cmp_ne_u64_e32 vcc, 0, v[2:3]
                                        ; implicit-def: $vgpr2_vgpr3
	s_and_saveexec_b64 s[0:1], vcc
	s_xor_b64 s[6:7], exec, s[0:1]
	s_cbranch_execz .LBB17_3
; %bb.2:
	v_cvt_f32_u32_e32 v2, s16
	v_cvt_f32_u32_e32 v3, s17
	s_sub_u32 s3, 0, s16
	s_subb_u32 s15, 0, s17
	v_madmk_f32 v2, v3, 0x4f800000, v2
	v_rcp_f32_e32 v2, v2
	v_mul_f32_e32 v2, 0x5f7ffffc, v2
	v_mul_f32_e32 v3, 0x2f800000, v2
	v_trunc_f32_e32 v3, v3
	v_madmk_f32 v2, v3, 0xcf800000, v2
	v_cvt_u32_f32_e32 v3, v3
	v_cvt_u32_f32_e32 v2, v2
	v_readfirstlane_b32 s20, v3
	v_readfirstlane_b32 s0, v2
	s_mul_i32 s1, s3, s20
	s_mul_hi_u32 s22, s3, s0
	s_mul_i32 s21, s15, s0
	s_add_i32 s1, s22, s1
	s_mul_i32 s23, s3, s0
	s_add_i32 s1, s1, s21
	s_mul_i32 s22, s0, s1
	s_mul_hi_u32 s24, s0, s23
	s_mul_hi_u32 s21, s0, s1
	s_add_u32 s22, s24, s22
	s_addc_u32 s21, 0, s21
	s_mul_hi_u32 s25, s20, s23
	s_mul_i32 s23, s20, s23
	s_add_u32 s22, s22, s23
	s_mul_hi_u32 s24, s20, s1
	s_addc_u32 s21, s21, s25
	s_addc_u32 s22, s24, 0
	s_mul_i32 s1, s20, s1
	s_add_u32 s1, s21, s1
	s_addc_u32 s21, 0, s22
	s_add_u32 s22, s0, s1
	s_cselect_b64 s[0:1], -1, 0
	s_cmp_lg_u64 s[0:1], 0
	s_addc_u32 s20, s20, s21
	s_mul_i32 s0, s3, s20
	s_mul_hi_u32 s1, s3, s22
	s_add_i32 s0, s1, s0
	s_mul_i32 s15, s15, s22
	s_add_i32 s0, s0, s15
	s_mul_i32 s3, s3, s22
	s_mul_hi_u32 s15, s20, s3
	s_mul_i32 s21, s20, s3
	s_mul_i32 s24, s22, s0
	s_mul_hi_u32 s3, s22, s3
	s_mul_hi_u32 s23, s22, s0
	s_add_u32 s3, s3, s24
	s_addc_u32 s23, 0, s23
	s_add_u32 s3, s3, s21
	s_mul_hi_u32 s1, s20, s0
	s_addc_u32 s3, s23, s15
	s_addc_u32 s1, s1, 0
	s_mul_i32 s0, s20, s0
	s_add_u32 s0, s3, s0
	s_addc_u32 s3, 0, s1
	s_add_u32 s15, s22, s0
	s_cselect_b64 s[0:1], -1, 0
	s_cmp_lg_u64 s[0:1], 0
	s_addc_u32 s3, s20, s3
	v_mad_u64_u32 v[2:3], s[0:1], v0, s3, 0
	v_mul_hi_u32 v4, v0, s15
	v_add_co_u32_e32 v6, vcc, v4, v2
	v_addc_co_u32_e32 v7, vcc, 0, v3, vcc
	v_mad_u64_u32 v[2:3], s[0:1], v1, s15, 0
	v_mad_u64_u32 v[4:5], s[0:1], v1, s3, 0
	v_add_co_u32_e32 v2, vcc, v6, v2
	v_addc_co_u32_e32 v2, vcc, v7, v3, vcc
	v_addc_co_u32_e32 v3, vcc, 0, v5, vcc
	v_add_co_u32_e32 v4, vcc, v2, v4
	v_addc_co_u32_e32 v5, vcc, 0, v3, vcc
	v_mul_lo_u32 v6, s17, v4
	v_mul_lo_u32 v7, s16, v5
	v_mad_u64_u32 v[2:3], s[0:1], s16, v4, 0
	v_add3_u32 v3, v3, v7, v6
	v_sub_u32_e32 v6, v1, v3
	v_mov_b32_e32 v7, s17
	v_sub_co_u32_e32 v2, vcc, v0, v2
	v_subb_co_u32_e64 v6, s[0:1], v6, v7, vcc
	v_subrev_co_u32_e64 v7, s[0:1], s16, v2
	v_subbrev_co_u32_e64 v6, s[0:1], 0, v6, s[0:1]
	v_cmp_le_u32_e64 s[0:1], s17, v6
	v_cndmask_b32_e64 v8, 0, -1, s[0:1]
	v_cmp_le_u32_e64 s[0:1], s16, v7
	v_cndmask_b32_e64 v7, 0, -1, s[0:1]
	v_cmp_eq_u32_e64 s[0:1], s17, v6
	v_cndmask_b32_e64 v6, v8, v7, s[0:1]
	v_add_co_u32_e64 v7, s[0:1], 2, v4
	v_subb_co_u32_e32 v1, vcc, v1, v3, vcc
	v_addc_co_u32_e64 v8, s[0:1], 0, v5, s[0:1]
	v_cmp_le_u32_e32 vcc, s17, v1
	v_add_co_u32_e64 v9, s[0:1], 1, v4
	v_cndmask_b32_e64 v3, 0, -1, vcc
	v_cmp_le_u32_e32 vcc, s16, v2
	v_addc_co_u32_e64 v10, s[0:1], 0, v5, s[0:1]
	v_cndmask_b32_e64 v2, 0, -1, vcc
	v_cmp_eq_u32_e32 vcc, s17, v1
	v_cmp_ne_u32_e64 s[0:1], 0, v6
	v_cndmask_b32_e32 v1, v3, v2, vcc
	v_cndmask_b32_e64 v6, v10, v8, s[0:1]
	v_cmp_ne_u32_e32 vcc, 0, v1
	v_cndmask_b32_e64 v1, v9, v7, s[0:1]
	v_cndmask_b32_e32 v3, v5, v6, vcc
	v_cndmask_b32_e32 v2, v4, v1, vcc
.LBB17_3:
	s_andn2_saveexec_b64 s[0:1], s[6:7]
	s_cbranch_execz .LBB17_5
; %bb.4:
	v_cvt_f32_u32_e32 v1, s16
	s_sub_i32 s3, 0, s16
	v_rcp_iflag_f32_e32 v1, v1
	v_mul_f32_e32 v1, 0x4f7ffffe, v1
	v_cvt_u32_f32_e32 v1, v1
	v_mul_lo_u32 v2, s3, v1
	v_mul_hi_u32 v2, v1, v2
	v_add_u32_e32 v1, v1, v2
	v_mul_hi_u32 v1, v0, v1
	v_mul_lo_u32 v2, v1, s16
	v_add_u32_e32 v3, 1, v1
	v_sub_u32_e32 v2, v0, v2
	v_subrev_u32_e32 v4, s16, v2
	v_cmp_le_u32_e32 vcc, s16, v2
	v_cndmask_b32_e32 v2, v2, v4, vcc
	v_cndmask_b32_e32 v1, v1, v3, vcc
	v_add_u32_e32 v3, 1, v1
	v_cmp_le_u32_e32 vcc, s16, v2
	v_cndmask_b32_e32 v2, v1, v3, vcc
	v_mov_b32_e32 v3, 0
.LBB17_5:
	s_or_b64 exec, exec, s[0:1]
	v_or_b32_e32 v5, s13, v3
	v_mov_b32_e32 v4, 0
	v_cmp_ne_u64_e32 vcc, 0, v[4:5]
                                        ; implicit-def: $vgpr4_vgpr5
	s_and_saveexec_b64 s[0:1], vcc
	s_xor_b64 s[6:7], exec, s[0:1]
	s_cbranch_execnz .LBB17_8
; %bb.6:
	s_andn2_saveexec_b64 s[0:1], s[6:7]
	s_cbranch_execnz .LBB17_9
.LBB17_7:
	s_or_b64 exec, exec, s[0:1]
	s_cmp_eq_u64 s[10:11], 0
	s_mov_b64 s[6:7], 0
	s_cbranch_scc0 .LBB17_10
	s_branch .LBB17_16
.LBB17_8:
	v_cvt_f32_u32_e32 v1, s12
	v_cvt_f32_u32_e32 v4, s13
	s_sub_u32 s3, 0, s12
	s_subb_u32 s15, 0, s13
	v_madmk_f32 v1, v4, 0x4f800000, v1
	v_rcp_f32_e32 v1, v1
	v_mul_f32_e32 v1, 0x5f7ffffc, v1
	v_mul_f32_e32 v4, 0x2f800000, v1
	v_trunc_f32_e32 v4, v4
	v_madmk_f32 v1, v4, 0xcf800000, v1
	v_cvt_u32_f32_e32 v4, v4
	v_cvt_u32_f32_e32 v1, v1
	v_readfirstlane_b32 s17, v4
	v_readfirstlane_b32 s0, v1
	s_mul_i32 s1, s3, s17
	s_mul_hi_u32 s21, s3, s0
	s_mul_i32 s20, s15, s0
	s_add_i32 s1, s21, s1
	s_mul_i32 s22, s3, s0
	s_add_i32 s1, s1, s20
	s_mul_i32 s21, s0, s1
	s_mul_hi_u32 s23, s0, s22
	s_mul_hi_u32 s20, s0, s1
	s_add_u32 s21, s23, s21
	s_addc_u32 s20, 0, s20
	s_mul_hi_u32 s24, s17, s22
	s_mul_i32 s22, s17, s22
	s_add_u32 s21, s21, s22
	s_mul_hi_u32 s23, s17, s1
	s_addc_u32 s20, s20, s24
	s_addc_u32 s21, s23, 0
	s_mul_i32 s1, s17, s1
	s_add_u32 s1, s20, s1
	s_addc_u32 s20, 0, s21
	s_add_u32 s21, s0, s1
	s_cselect_b64 s[0:1], -1, 0
	s_cmp_lg_u64 s[0:1], 0
	s_addc_u32 s17, s17, s20
	s_mul_i32 s0, s3, s17
	s_mul_hi_u32 s1, s3, s21
	s_add_i32 s0, s1, s0
	s_mul_i32 s15, s15, s21
	s_add_i32 s0, s0, s15
	s_mul_i32 s3, s3, s21
	s_mul_hi_u32 s15, s17, s3
	s_mul_i32 s20, s17, s3
	s_mul_i32 s23, s21, s0
	s_mul_hi_u32 s3, s21, s3
	s_mul_hi_u32 s22, s21, s0
	s_add_u32 s3, s3, s23
	s_addc_u32 s22, 0, s22
	s_add_u32 s3, s3, s20
	s_mul_hi_u32 s1, s17, s0
	s_addc_u32 s3, s22, s15
	s_addc_u32 s1, s1, 0
	s_mul_i32 s0, s17, s0
	s_add_u32 s0, s3, s0
	s_addc_u32 s3, 0, s1
	s_add_u32 s15, s21, s0
	s_cselect_b64 s[0:1], -1, 0
	s_cmp_lg_u64 s[0:1], 0
	s_addc_u32 s3, s17, s3
	v_mad_u64_u32 v[4:5], s[0:1], v2, s3, 0
	v_mul_hi_u32 v1, v2, s15
	v_mad_u64_u32 v[6:7], s[0:1], v3, s3, 0
	v_add_co_u32_e32 v1, vcc, v1, v4
	v_addc_co_u32_e32 v8, vcc, 0, v5, vcc
	v_mad_u64_u32 v[4:5], s[0:1], v3, s15, 0
	v_add_co_u32_e32 v1, vcc, v1, v4
	v_addc_co_u32_e32 v1, vcc, v8, v5, vcc
	v_addc_co_u32_e32 v4, vcc, 0, v7, vcc
	v_add_co_u32_e32 v1, vcc, v1, v6
	v_addc_co_u32_e32 v4, vcc, 0, v4, vcc
	v_mul_lo_u32 v6, s13, v1
	v_mul_lo_u32 v7, s12, v4
	v_mad_u64_u32 v[4:5], s[0:1], s12, v1, 0
	v_add3_u32 v1, v5, v7, v6
	v_sub_u32_e32 v5, v3, v1
	v_mov_b32_e32 v6, s13
	v_sub_co_u32_e32 v4, vcc, v2, v4
	v_subb_co_u32_e64 v5, s[0:1], v5, v6, vcc
	v_subrev_co_u32_e64 v6, s[0:1], s12, v4
	v_subbrev_co_u32_e64 v5, s[0:1], 0, v5, s[0:1]
	v_cmp_le_u32_e64 s[0:1], s13, v5
	v_subb_co_u32_e32 v1, vcc, v3, v1, vcc
	v_cndmask_b32_e64 v7, 0, -1, s[0:1]
	v_cmp_le_u32_e64 s[0:1], s12, v6
	v_cmp_le_u32_e32 vcc, s13, v1
	v_cndmask_b32_e64 v8, 0, -1, s[0:1]
	v_cmp_eq_u32_e64 s[0:1], s13, v5
	v_cndmask_b32_e64 v3, 0, -1, vcc
	v_cmp_le_u32_e32 vcc, s12, v4
	v_cndmask_b32_e64 v5, v7, v8, s[0:1]
	v_cndmask_b32_e64 v8, 0, -1, vcc
	v_cmp_eq_u32_e32 vcc, s13, v1
	v_subrev_co_u32_e64 v7, s[0:1], s12, v6
	v_cndmask_b32_e32 v1, v3, v8, vcc
	v_cmp_ne_u32_e32 vcc, 0, v5
	v_cndmask_b32_e32 v3, v6, v7, vcc
	v_cmp_ne_u32_e32 vcc, 0, v1
	v_cndmask_b32_e32 v4, v4, v3, vcc
	s_andn2_saveexec_b64 s[0:1], s[6:7]
	s_cbranch_execz .LBB17_7
.LBB17_9:
	v_cvt_f32_u32_e32 v1, s12
	s_sub_i32 s3, 0, s12
	v_rcp_iflag_f32_e32 v1, v1
	v_mul_f32_e32 v1, 0x4f7ffffe, v1
	v_cvt_u32_f32_e32 v1, v1
	v_mul_lo_u32 v3, s3, v1
	v_mul_hi_u32 v3, v1, v3
	v_add_u32_e32 v1, v1, v3
	v_mul_hi_u32 v1, v2, v1
	v_mul_lo_u32 v1, v1, s12
	v_sub_u32_e32 v1, v2, v1
	v_subrev_u32_e32 v3, s12, v1
	v_cmp_le_u32_e32 vcc, s12, v1
	v_cndmask_b32_e32 v1, v1, v3, vcc
	v_subrev_u32_e32 v3, s12, v1
	v_cmp_le_u32_e32 vcc, s12, v1
	v_cndmask_b32_e32 v4, v1, v3, vcc
	s_or_b64 exec, exec, s[0:1]
	s_cmp_eq_u64 s[10:11], 0
	s_mov_b64 s[6:7], 0
	s_cbranch_scc1 .LBB17_16
.LBB17_10:
	v_mul_lo_u32 v1, v2, s16
	s_load_dword s0, s[4:5], 0x30
	v_mov_b32_e32 v7, s19
	v_sub_u32_e32 v1, v0, v1
	v_cvt_f32_i32_e32 v2, v1
	v_add_u32_e32 v1, 1, v1
	v_cvt_f32_i32_e32 v1, v1
	s_waitcnt lgkmcnt(0)
	v_fma_f32 v2, s0, v2, -0.5
	v_ceil_f32_e32 v2, v2
	v_fma_f32 v1, s0, v1, -0.5
	v_ceil_f32_e32 v1, v1
	v_cvt_i32_f32_e32 v1, v1
	v_cvt_i32_f32_e32 v5, v2
	v_min_i32_e32 v3, s14, v1
	v_min_i32_e32 v2, s14, v5
	v_cmp_gt_i32_e64 s[0:1], v3, v5
	s_branch .LBB17_12
.LBB17_11:                              ;   in Loop: Header=BB17_12 Depth=1
	s_or_b64 exec, exec, s[4:5]
	v_ashrrev_i32_e32 v1, 31, v0
	v_lshlrev_b64 v[8:9], 1, v[0:1]
	s_add_u32 s6, s6, 1
	v_add_co_u32_e32 v8, vcc, s18, v8
	v_addc_co_u32_e32 v9, vcc, v7, v9, vcc
	global_store_short v[8:9], v5, off
	s_addc_u32 s7, s7, 0
	v_mov_b32_e32 v5, s6
	v_mov_b32_e32 v6, s7
	v_cmp_le_u64_e32 vcc, s[10:11], v[5:6]
	v_add_u32_e32 v0, s2, v0
	s_cbranch_vccnz .LBB17_16
.LBB17_12:                              ; =>This Loop Header: Depth=1
                                        ;     Child Loop BB17_14 Depth 2
	v_mov_b32_e32 v5, 0
	s_and_saveexec_b64 s[4:5], s[0:1]
	s_cbranch_execz .LBB17_11
; %bb.13:                               ;   in Loop: Header=BB17_12 Depth=1
	s_mul_i32 s3, s6, s12
	v_add_u32_e32 v1, s3, v4
	v_mad_u64_u32 v[5:6], s[16:17], v1, s14, v[2:3]
	v_mov_b32_e32 v1, 0
	s_mov_b64 s[16:17], 0
	v_mov_b32_e32 v8, v2
.LBB17_14:                              ;   Parent Loop BB17_12 Depth=1
                                        ; =>  This Inner Loop Header: Depth=2
	v_ashrrev_i32_e32 v6, 31, v5
	v_lshlrev_b64 v[9:10], 1, v[5:6]
	v_mov_b32_e32 v11, s9
	v_add_co_u32_e32 v9, vcc, s8, v9
	v_addc_co_u32_e32 v10, vcc, v11, v10, vcc
	global_load_ushort v6, v[9:10], off
	v_add_u32_e32 v8, 1, v8
	v_cmp_ge_i32_e32 vcc, v8, v3
	v_add_u32_e32 v5, 1, v5
	s_or_b64 s[16:17], vcc, s[16:17]
	s_waitcnt vmcnt(0)
	v_cvt_f32_f16_e32 v6, v6
	v_add_f32_e32 v1, v1, v6
	s_andn2_b64 exec, exec, s[16:17]
	s_cbranch_execnz .LBB17_14
; %bb.15:                               ;   in Loop: Header=BB17_12 Depth=1
	s_or_b64 exec, exec, s[16:17]
	v_cvt_f16_f32_e32 v5, v1
	s_branch .LBB17_11
.LBB17_16:
	s_endpgm
	.section	.rodata,"a",@progbits
	.p2align	6, 0x0
	.amdhsa_kernel _ZN2at6native12_GLOBAL__N_137upsample_nearest1d_backward_out_frameIN3c104HalfEfXadL_ZNS0_46nearest_neighbor_exact_bw_compute_source_indexEfiiEEEEvPKT_mmmmPS5_f
		.amdhsa_group_segment_fixed_size 0
		.amdhsa_private_segment_fixed_size 0
		.amdhsa_kernarg_size 312
		.amdhsa_user_sgpr_count 6
		.amdhsa_user_sgpr_private_segment_buffer 1
		.amdhsa_user_sgpr_dispatch_ptr 0
		.amdhsa_user_sgpr_queue_ptr 0
		.amdhsa_user_sgpr_kernarg_segment_ptr 1
		.amdhsa_user_sgpr_dispatch_id 0
		.amdhsa_user_sgpr_flat_scratch_init 0
		.amdhsa_user_sgpr_private_segment_size 0
		.amdhsa_uses_dynamic_stack 0
		.amdhsa_system_sgpr_private_segment_wavefront_offset 0
		.amdhsa_system_sgpr_workgroup_id_x 1
		.amdhsa_system_sgpr_workgroup_id_y 0
		.amdhsa_system_sgpr_workgroup_id_z 0
		.amdhsa_system_sgpr_workgroup_info 0
		.amdhsa_system_vgpr_workitem_id 0
		.amdhsa_next_free_vgpr 12
		.amdhsa_next_free_sgpr 26
		.amdhsa_reserve_vcc 1
		.amdhsa_reserve_flat_scratch 0
		.amdhsa_float_round_mode_32 0
		.amdhsa_float_round_mode_16_64 0
		.amdhsa_float_denorm_mode_32 3
		.amdhsa_float_denorm_mode_16_64 3
		.amdhsa_dx10_clamp 1
		.amdhsa_ieee_mode 1
		.amdhsa_fp16_overflow 0
		.amdhsa_exception_fp_ieee_invalid_op 0
		.amdhsa_exception_fp_denorm_src 0
		.amdhsa_exception_fp_ieee_div_zero 0
		.amdhsa_exception_fp_ieee_overflow 0
		.amdhsa_exception_fp_ieee_underflow 0
		.amdhsa_exception_fp_ieee_inexact 0
		.amdhsa_exception_int_div_zero 0
	.end_amdhsa_kernel
	.section	.text._ZN2at6native12_GLOBAL__N_137upsample_nearest1d_backward_out_frameIN3c104HalfEfXadL_ZNS0_46nearest_neighbor_exact_bw_compute_source_indexEfiiEEEEvPKT_mmmmPS5_f,"axG",@progbits,_ZN2at6native12_GLOBAL__N_137upsample_nearest1d_backward_out_frameIN3c104HalfEfXadL_ZNS0_46nearest_neighbor_exact_bw_compute_source_indexEfiiEEEEvPKT_mmmmPS5_f,comdat
.Lfunc_end17:
	.size	_ZN2at6native12_GLOBAL__N_137upsample_nearest1d_backward_out_frameIN3c104HalfEfXadL_ZNS0_46nearest_neighbor_exact_bw_compute_source_indexEfiiEEEEvPKT_mmmmPS5_f, .Lfunc_end17-_ZN2at6native12_GLOBAL__N_137upsample_nearest1d_backward_out_frameIN3c104HalfEfXadL_ZNS0_46nearest_neighbor_exact_bw_compute_source_indexEfiiEEEEvPKT_mmmmPS5_f
                                        ; -- End function
	.set _ZN2at6native12_GLOBAL__N_137upsample_nearest1d_backward_out_frameIN3c104HalfEfXadL_ZNS0_46nearest_neighbor_exact_bw_compute_source_indexEfiiEEEEvPKT_mmmmPS5_f.num_vgpr, 12
	.set _ZN2at6native12_GLOBAL__N_137upsample_nearest1d_backward_out_frameIN3c104HalfEfXadL_ZNS0_46nearest_neighbor_exact_bw_compute_source_indexEfiiEEEEvPKT_mmmmPS5_f.num_agpr, 0
	.set _ZN2at6native12_GLOBAL__N_137upsample_nearest1d_backward_out_frameIN3c104HalfEfXadL_ZNS0_46nearest_neighbor_exact_bw_compute_source_indexEfiiEEEEvPKT_mmmmPS5_f.numbered_sgpr, 26
	.set _ZN2at6native12_GLOBAL__N_137upsample_nearest1d_backward_out_frameIN3c104HalfEfXadL_ZNS0_46nearest_neighbor_exact_bw_compute_source_indexEfiiEEEEvPKT_mmmmPS5_f.num_named_barrier, 0
	.set _ZN2at6native12_GLOBAL__N_137upsample_nearest1d_backward_out_frameIN3c104HalfEfXadL_ZNS0_46nearest_neighbor_exact_bw_compute_source_indexEfiiEEEEvPKT_mmmmPS5_f.private_seg_size, 0
	.set _ZN2at6native12_GLOBAL__N_137upsample_nearest1d_backward_out_frameIN3c104HalfEfXadL_ZNS0_46nearest_neighbor_exact_bw_compute_source_indexEfiiEEEEvPKT_mmmmPS5_f.uses_vcc, 1
	.set _ZN2at6native12_GLOBAL__N_137upsample_nearest1d_backward_out_frameIN3c104HalfEfXadL_ZNS0_46nearest_neighbor_exact_bw_compute_source_indexEfiiEEEEvPKT_mmmmPS5_f.uses_flat_scratch, 0
	.set _ZN2at6native12_GLOBAL__N_137upsample_nearest1d_backward_out_frameIN3c104HalfEfXadL_ZNS0_46nearest_neighbor_exact_bw_compute_source_indexEfiiEEEEvPKT_mmmmPS5_f.has_dyn_sized_stack, 0
	.set _ZN2at6native12_GLOBAL__N_137upsample_nearest1d_backward_out_frameIN3c104HalfEfXadL_ZNS0_46nearest_neighbor_exact_bw_compute_source_indexEfiiEEEEvPKT_mmmmPS5_f.has_recursion, 0
	.set _ZN2at6native12_GLOBAL__N_137upsample_nearest1d_backward_out_frameIN3c104HalfEfXadL_ZNS0_46nearest_neighbor_exact_bw_compute_source_indexEfiiEEEEvPKT_mmmmPS5_f.has_indirect_call, 0
	.section	.AMDGPU.csdata,"",@progbits
; Kernel info:
; codeLenInByte = 1720
; TotalNumSgprs: 30
; NumVgprs: 12
; ScratchSize: 0
; MemoryBound: 0
; FloatMode: 240
; IeeeMode: 1
; LDSByteSize: 0 bytes/workgroup (compile time only)
; SGPRBlocks: 3
; VGPRBlocks: 2
; NumSGPRsForWavesPerEU: 30
; NumVGPRsForWavesPerEU: 12
; Occupancy: 10
; WaveLimiterHint : 0
; COMPUTE_PGM_RSRC2:SCRATCH_EN: 0
; COMPUTE_PGM_RSRC2:USER_SGPR: 6
; COMPUTE_PGM_RSRC2:TRAP_HANDLER: 0
; COMPUTE_PGM_RSRC2:TGID_X_EN: 1
; COMPUTE_PGM_RSRC2:TGID_Y_EN: 0
; COMPUTE_PGM_RSRC2:TGID_Z_EN: 0
; COMPUTE_PGM_RSRC2:TIDIG_COMP_CNT: 0
	.section	.text._ZN2at6native12_GLOBAL__N_137upsample_nearest1d_backward_out_frameIN3c108BFloat16EfXadL_ZNS0_46nearest_neighbor_exact_bw_compute_source_indexEfiiEEEEvPKT_mmmmPS5_f,"axG",@progbits,_ZN2at6native12_GLOBAL__N_137upsample_nearest1d_backward_out_frameIN3c108BFloat16EfXadL_ZNS0_46nearest_neighbor_exact_bw_compute_source_indexEfiiEEEEvPKT_mmmmPS5_f,comdat
	.globl	_ZN2at6native12_GLOBAL__N_137upsample_nearest1d_backward_out_frameIN3c108BFloat16EfXadL_ZNS0_46nearest_neighbor_exact_bw_compute_source_indexEfiiEEEEvPKT_mmmmPS5_f ; -- Begin function _ZN2at6native12_GLOBAL__N_137upsample_nearest1d_backward_out_frameIN3c108BFloat16EfXadL_ZNS0_46nearest_neighbor_exact_bw_compute_source_indexEfiiEEEEvPKT_mmmmPS5_f
	.p2align	8
	.type	_ZN2at6native12_GLOBAL__N_137upsample_nearest1d_backward_out_frameIN3c108BFloat16EfXadL_ZNS0_46nearest_neighbor_exact_bw_compute_source_indexEfiiEEEEvPKT_mmmmPS5_f,@function
_ZN2at6native12_GLOBAL__N_137upsample_nearest1d_backward_out_frameIN3c108BFloat16EfXadL_ZNS0_46nearest_neighbor_exact_bw_compute_source_indexEfiiEEEEvPKT_mmmmPS5_f: ; @_ZN2at6native12_GLOBAL__N_137upsample_nearest1d_backward_out_frameIN3c108BFloat16EfXadL_ZNS0_46nearest_neighbor_exact_bw_compute_source_indexEfiiEEEEvPKT_mmmmPS5_f
; %bb.0:
	s_load_dword s0, s[4:5], 0x44
	s_load_dwordx4 s[16:19], s[4:5], 0x20
	s_load_dwordx8 s[8:15], s[4:5], 0x0
	s_waitcnt lgkmcnt(0)
	s_and_b32 s0, s0, 0xffff
	s_mul_i32 s6, s6, s0
	s_mul_i32 s0, s16, s13
	s_mul_hi_u32 s1, s16, s12
	v_add_u32_e32 v0, s6, v0
	s_add_i32 s0, s1, s0
	s_mul_i32 s1, s17, s12
	v_ashrrev_i32_e32 v1, 31, v0
	s_add_i32 s3, s0, s1
	s_mul_i32 s2, s16, s12
	v_cmp_gt_u64_e32 vcc, s[2:3], v[0:1]
	s_and_saveexec_b64 s[0:1], vcc
	s_cbranch_execz .LBB18_16
; %bb.1:
	v_or_b32_e32 v3, s17, v1
	v_mov_b32_e32 v2, 0
	v_cmp_ne_u64_e32 vcc, 0, v[2:3]
                                        ; implicit-def: $vgpr2_vgpr3
	s_and_saveexec_b64 s[0:1], vcc
	s_xor_b64 s[6:7], exec, s[0:1]
	s_cbranch_execz .LBB18_3
; %bb.2:
	v_cvt_f32_u32_e32 v2, s16
	v_cvt_f32_u32_e32 v3, s17
	s_sub_u32 s3, 0, s16
	s_subb_u32 s15, 0, s17
	v_madmk_f32 v2, v3, 0x4f800000, v2
	v_rcp_f32_e32 v2, v2
	v_mul_f32_e32 v2, 0x5f7ffffc, v2
	v_mul_f32_e32 v3, 0x2f800000, v2
	v_trunc_f32_e32 v3, v3
	v_madmk_f32 v2, v3, 0xcf800000, v2
	v_cvt_u32_f32_e32 v3, v3
	v_cvt_u32_f32_e32 v2, v2
	v_readfirstlane_b32 s20, v3
	v_readfirstlane_b32 s0, v2
	s_mul_i32 s1, s3, s20
	s_mul_hi_u32 s22, s3, s0
	s_mul_i32 s21, s15, s0
	s_add_i32 s1, s22, s1
	s_mul_i32 s23, s3, s0
	s_add_i32 s1, s1, s21
	s_mul_i32 s22, s0, s1
	s_mul_hi_u32 s24, s0, s23
	s_mul_hi_u32 s21, s0, s1
	s_add_u32 s22, s24, s22
	s_addc_u32 s21, 0, s21
	s_mul_hi_u32 s25, s20, s23
	s_mul_i32 s23, s20, s23
	s_add_u32 s22, s22, s23
	s_mul_hi_u32 s24, s20, s1
	s_addc_u32 s21, s21, s25
	s_addc_u32 s22, s24, 0
	s_mul_i32 s1, s20, s1
	s_add_u32 s1, s21, s1
	s_addc_u32 s21, 0, s22
	s_add_u32 s22, s0, s1
	s_cselect_b64 s[0:1], -1, 0
	s_cmp_lg_u64 s[0:1], 0
	s_addc_u32 s20, s20, s21
	s_mul_i32 s0, s3, s20
	s_mul_hi_u32 s1, s3, s22
	s_add_i32 s0, s1, s0
	s_mul_i32 s15, s15, s22
	s_add_i32 s0, s0, s15
	s_mul_i32 s3, s3, s22
	s_mul_hi_u32 s15, s20, s3
	s_mul_i32 s21, s20, s3
	s_mul_i32 s24, s22, s0
	s_mul_hi_u32 s3, s22, s3
	s_mul_hi_u32 s23, s22, s0
	s_add_u32 s3, s3, s24
	s_addc_u32 s23, 0, s23
	s_add_u32 s3, s3, s21
	s_mul_hi_u32 s1, s20, s0
	s_addc_u32 s3, s23, s15
	s_addc_u32 s1, s1, 0
	s_mul_i32 s0, s20, s0
	s_add_u32 s0, s3, s0
	s_addc_u32 s3, 0, s1
	s_add_u32 s15, s22, s0
	s_cselect_b64 s[0:1], -1, 0
	s_cmp_lg_u64 s[0:1], 0
	s_addc_u32 s3, s20, s3
	v_mad_u64_u32 v[2:3], s[0:1], v0, s3, 0
	v_mul_hi_u32 v4, v0, s15
	v_add_co_u32_e32 v6, vcc, v4, v2
	v_addc_co_u32_e32 v7, vcc, 0, v3, vcc
	v_mad_u64_u32 v[2:3], s[0:1], v1, s15, 0
	v_mad_u64_u32 v[4:5], s[0:1], v1, s3, 0
	v_add_co_u32_e32 v2, vcc, v6, v2
	v_addc_co_u32_e32 v2, vcc, v7, v3, vcc
	v_addc_co_u32_e32 v3, vcc, 0, v5, vcc
	v_add_co_u32_e32 v4, vcc, v2, v4
	v_addc_co_u32_e32 v5, vcc, 0, v3, vcc
	v_mul_lo_u32 v6, s17, v4
	v_mul_lo_u32 v7, s16, v5
	v_mad_u64_u32 v[2:3], s[0:1], s16, v4, 0
	v_add3_u32 v3, v3, v7, v6
	v_sub_u32_e32 v6, v1, v3
	v_mov_b32_e32 v7, s17
	v_sub_co_u32_e32 v2, vcc, v0, v2
	v_subb_co_u32_e64 v6, s[0:1], v6, v7, vcc
	v_subrev_co_u32_e64 v7, s[0:1], s16, v2
	v_subbrev_co_u32_e64 v6, s[0:1], 0, v6, s[0:1]
	v_cmp_le_u32_e64 s[0:1], s17, v6
	v_cndmask_b32_e64 v8, 0, -1, s[0:1]
	v_cmp_le_u32_e64 s[0:1], s16, v7
	v_cndmask_b32_e64 v7, 0, -1, s[0:1]
	v_cmp_eq_u32_e64 s[0:1], s17, v6
	v_cndmask_b32_e64 v6, v8, v7, s[0:1]
	v_add_co_u32_e64 v7, s[0:1], 2, v4
	v_subb_co_u32_e32 v1, vcc, v1, v3, vcc
	v_addc_co_u32_e64 v8, s[0:1], 0, v5, s[0:1]
	v_cmp_le_u32_e32 vcc, s17, v1
	v_add_co_u32_e64 v9, s[0:1], 1, v4
	v_cndmask_b32_e64 v3, 0, -1, vcc
	v_cmp_le_u32_e32 vcc, s16, v2
	v_addc_co_u32_e64 v10, s[0:1], 0, v5, s[0:1]
	v_cndmask_b32_e64 v2, 0, -1, vcc
	v_cmp_eq_u32_e32 vcc, s17, v1
	v_cmp_ne_u32_e64 s[0:1], 0, v6
	v_cndmask_b32_e32 v1, v3, v2, vcc
	v_cndmask_b32_e64 v6, v10, v8, s[0:1]
	v_cmp_ne_u32_e32 vcc, 0, v1
	v_cndmask_b32_e64 v1, v9, v7, s[0:1]
	v_cndmask_b32_e32 v3, v5, v6, vcc
	v_cndmask_b32_e32 v2, v4, v1, vcc
.LBB18_3:
	s_andn2_saveexec_b64 s[0:1], s[6:7]
	s_cbranch_execz .LBB18_5
; %bb.4:
	v_cvt_f32_u32_e32 v1, s16
	s_sub_i32 s3, 0, s16
	v_rcp_iflag_f32_e32 v1, v1
	v_mul_f32_e32 v1, 0x4f7ffffe, v1
	v_cvt_u32_f32_e32 v1, v1
	v_mul_lo_u32 v2, s3, v1
	v_mul_hi_u32 v2, v1, v2
	v_add_u32_e32 v1, v1, v2
	v_mul_hi_u32 v1, v0, v1
	v_mul_lo_u32 v2, v1, s16
	v_add_u32_e32 v3, 1, v1
	v_sub_u32_e32 v2, v0, v2
	v_subrev_u32_e32 v4, s16, v2
	v_cmp_le_u32_e32 vcc, s16, v2
	v_cndmask_b32_e32 v2, v2, v4, vcc
	v_cndmask_b32_e32 v1, v1, v3, vcc
	v_add_u32_e32 v3, 1, v1
	v_cmp_le_u32_e32 vcc, s16, v2
	v_cndmask_b32_e32 v2, v1, v3, vcc
	v_mov_b32_e32 v3, 0
.LBB18_5:
	s_or_b64 exec, exec, s[0:1]
	v_or_b32_e32 v5, s13, v3
	v_mov_b32_e32 v4, 0
	v_cmp_ne_u64_e32 vcc, 0, v[4:5]
                                        ; implicit-def: $vgpr4_vgpr5
	s_and_saveexec_b64 s[0:1], vcc
	s_xor_b64 s[6:7], exec, s[0:1]
	s_cbranch_execnz .LBB18_8
; %bb.6:
	s_andn2_saveexec_b64 s[0:1], s[6:7]
	s_cbranch_execnz .LBB18_9
.LBB18_7:
	s_or_b64 exec, exec, s[0:1]
	s_cmp_eq_u64 s[10:11], 0
	s_mov_b64 s[6:7], 0
	s_cbranch_scc0 .LBB18_10
	s_branch .LBB18_16
.LBB18_8:
	v_cvt_f32_u32_e32 v1, s12
	v_cvt_f32_u32_e32 v4, s13
	s_sub_u32 s3, 0, s12
	s_subb_u32 s15, 0, s13
	v_madmk_f32 v1, v4, 0x4f800000, v1
	v_rcp_f32_e32 v1, v1
	v_mul_f32_e32 v1, 0x5f7ffffc, v1
	v_mul_f32_e32 v4, 0x2f800000, v1
	v_trunc_f32_e32 v4, v4
	v_madmk_f32 v1, v4, 0xcf800000, v1
	v_cvt_u32_f32_e32 v4, v4
	v_cvt_u32_f32_e32 v1, v1
	v_readfirstlane_b32 s17, v4
	v_readfirstlane_b32 s0, v1
	s_mul_i32 s1, s3, s17
	s_mul_hi_u32 s21, s3, s0
	s_mul_i32 s20, s15, s0
	s_add_i32 s1, s21, s1
	s_mul_i32 s22, s3, s0
	s_add_i32 s1, s1, s20
	s_mul_i32 s21, s0, s1
	s_mul_hi_u32 s23, s0, s22
	s_mul_hi_u32 s20, s0, s1
	s_add_u32 s21, s23, s21
	s_addc_u32 s20, 0, s20
	s_mul_hi_u32 s24, s17, s22
	s_mul_i32 s22, s17, s22
	s_add_u32 s21, s21, s22
	s_mul_hi_u32 s23, s17, s1
	s_addc_u32 s20, s20, s24
	s_addc_u32 s21, s23, 0
	s_mul_i32 s1, s17, s1
	s_add_u32 s1, s20, s1
	s_addc_u32 s20, 0, s21
	s_add_u32 s21, s0, s1
	s_cselect_b64 s[0:1], -1, 0
	s_cmp_lg_u64 s[0:1], 0
	s_addc_u32 s17, s17, s20
	s_mul_i32 s0, s3, s17
	s_mul_hi_u32 s1, s3, s21
	s_add_i32 s0, s1, s0
	s_mul_i32 s15, s15, s21
	s_add_i32 s0, s0, s15
	s_mul_i32 s3, s3, s21
	s_mul_hi_u32 s15, s17, s3
	s_mul_i32 s20, s17, s3
	s_mul_i32 s23, s21, s0
	s_mul_hi_u32 s3, s21, s3
	s_mul_hi_u32 s22, s21, s0
	s_add_u32 s3, s3, s23
	s_addc_u32 s22, 0, s22
	s_add_u32 s3, s3, s20
	s_mul_hi_u32 s1, s17, s0
	s_addc_u32 s3, s22, s15
	s_addc_u32 s1, s1, 0
	s_mul_i32 s0, s17, s0
	s_add_u32 s0, s3, s0
	s_addc_u32 s3, 0, s1
	s_add_u32 s15, s21, s0
	s_cselect_b64 s[0:1], -1, 0
	s_cmp_lg_u64 s[0:1], 0
	s_addc_u32 s3, s17, s3
	v_mad_u64_u32 v[4:5], s[0:1], v2, s3, 0
	v_mul_hi_u32 v1, v2, s15
	v_mad_u64_u32 v[6:7], s[0:1], v3, s3, 0
	v_add_co_u32_e32 v1, vcc, v1, v4
	v_addc_co_u32_e32 v8, vcc, 0, v5, vcc
	v_mad_u64_u32 v[4:5], s[0:1], v3, s15, 0
	v_add_co_u32_e32 v1, vcc, v1, v4
	v_addc_co_u32_e32 v1, vcc, v8, v5, vcc
	v_addc_co_u32_e32 v4, vcc, 0, v7, vcc
	v_add_co_u32_e32 v1, vcc, v1, v6
	v_addc_co_u32_e32 v4, vcc, 0, v4, vcc
	v_mul_lo_u32 v6, s13, v1
	v_mul_lo_u32 v7, s12, v4
	v_mad_u64_u32 v[4:5], s[0:1], s12, v1, 0
	v_add3_u32 v1, v5, v7, v6
	v_sub_u32_e32 v5, v3, v1
	v_mov_b32_e32 v6, s13
	v_sub_co_u32_e32 v4, vcc, v2, v4
	v_subb_co_u32_e64 v5, s[0:1], v5, v6, vcc
	v_subrev_co_u32_e64 v6, s[0:1], s12, v4
	v_subbrev_co_u32_e64 v5, s[0:1], 0, v5, s[0:1]
	v_cmp_le_u32_e64 s[0:1], s13, v5
	v_subb_co_u32_e32 v1, vcc, v3, v1, vcc
	v_cndmask_b32_e64 v7, 0, -1, s[0:1]
	v_cmp_le_u32_e64 s[0:1], s12, v6
	v_cmp_le_u32_e32 vcc, s13, v1
	v_cndmask_b32_e64 v8, 0, -1, s[0:1]
	v_cmp_eq_u32_e64 s[0:1], s13, v5
	v_cndmask_b32_e64 v3, 0, -1, vcc
	v_cmp_le_u32_e32 vcc, s12, v4
	v_cndmask_b32_e64 v5, v7, v8, s[0:1]
	v_cndmask_b32_e64 v8, 0, -1, vcc
	v_cmp_eq_u32_e32 vcc, s13, v1
	v_subrev_co_u32_e64 v7, s[0:1], s12, v6
	v_cndmask_b32_e32 v1, v3, v8, vcc
	v_cmp_ne_u32_e32 vcc, 0, v5
	v_cndmask_b32_e32 v3, v6, v7, vcc
	v_cmp_ne_u32_e32 vcc, 0, v1
	v_cndmask_b32_e32 v4, v4, v3, vcc
	s_andn2_saveexec_b64 s[0:1], s[6:7]
	s_cbranch_execz .LBB18_7
.LBB18_9:
	v_cvt_f32_u32_e32 v1, s12
	s_sub_i32 s3, 0, s12
	v_rcp_iflag_f32_e32 v1, v1
	v_mul_f32_e32 v1, 0x4f7ffffe, v1
	v_cvt_u32_f32_e32 v1, v1
	v_mul_lo_u32 v3, s3, v1
	v_mul_hi_u32 v3, v1, v3
	v_add_u32_e32 v1, v1, v3
	v_mul_hi_u32 v1, v2, v1
	v_mul_lo_u32 v1, v1, s12
	v_sub_u32_e32 v1, v2, v1
	v_subrev_u32_e32 v3, s12, v1
	v_cmp_le_u32_e32 vcc, s12, v1
	v_cndmask_b32_e32 v1, v1, v3, vcc
	v_subrev_u32_e32 v3, s12, v1
	v_cmp_le_u32_e32 vcc, s12, v1
	v_cndmask_b32_e32 v4, v1, v3, vcc
	s_or_b64 exec, exec, s[0:1]
	s_cmp_eq_u64 s[10:11], 0
	s_mov_b64 s[6:7], 0
	s_cbranch_scc1 .LBB18_16
.LBB18_10:
	v_mul_lo_u32 v1, v2, s16
	s_load_dword s0, s[4:5], 0x30
	s_movk_i32 s3, 0x7fff
	v_mov_b32_e32 v3, 0x7fc0
	v_sub_u32_e32 v1, v0, v1
	v_cvt_f32_i32_e32 v2, v1
	v_add_u32_e32 v1, 1, v1
	v_cvt_f32_i32_e32 v1, v1
	v_mov_b32_e32 v8, s19
	s_waitcnt lgkmcnt(0)
	v_fma_f32 v2, s0, v2, -0.5
	v_ceil_f32_e32 v2, v2
	v_fma_f32 v1, s0, v1, -0.5
	v_ceil_f32_e32 v1, v1
	v_cvt_i32_f32_e32 v1, v1
	v_cvt_i32_f32_e32 v5, v2
	v_min_i32_e32 v7, s14, v1
	v_min_i32_e32 v2, s14, v5
	v_cmp_gt_i32_e64 s[0:1], v7, v5
	s_branch .LBB18_12
.LBB18_11:                              ;   in Loop: Header=BB18_12 Depth=1
	s_or_b64 exec, exec, s[4:5]
	v_bfe_u32 v5, v1, 16, 1
	v_add3_u32 v5, v1, v5, s3
	v_cmp_o_f32_e32 vcc, v1, v1
	v_ashrrev_i32_e32 v1, 31, v0
	v_cndmask_b32_sdwa v9, v3, v5, vcc dst_sel:DWORD dst_unused:UNUSED_PAD src0_sel:DWORD src1_sel:WORD_1
	v_lshlrev_b64 v[5:6], 1, v[0:1]
	s_add_u32 s6, s6, 1
	v_add_co_u32_e32 v5, vcc, s18, v5
	v_addc_co_u32_e32 v6, vcc, v8, v6, vcc
	global_store_short v[5:6], v9, off
	s_addc_u32 s7, s7, 0
	v_mov_b32_e32 v5, s6
	v_mov_b32_e32 v6, s7
	v_cmp_le_u64_e32 vcc, s[10:11], v[5:6]
	v_add_u32_e32 v0, s2, v0
	s_cbranch_vccnz .LBB18_16
.LBB18_12:                              ; =>This Loop Header: Depth=1
                                        ;     Child Loop BB18_14 Depth 2
	v_mov_b32_e32 v1, 0
	s_and_saveexec_b64 s[4:5], s[0:1]
	s_cbranch_execz .LBB18_11
; %bb.13:                               ;   in Loop: Header=BB18_12 Depth=1
	s_mul_i32 s13, s6, s12
	v_add_u32_e32 v1, s13, v4
	v_mad_u64_u32 v[5:6], s[16:17], v1, s14, v[2:3]
	v_mov_b32_e32 v1, 0
	s_mov_b64 s[16:17], 0
	v_mov_b32_e32 v9, v2
.LBB18_14:                              ;   Parent Loop BB18_12 Depth=1
                                        ; =>  This Inner Loop Header: Depth=2
	v_ashrrev_i32_e32 v6, 31, v5
	v_lshlrev_b64 v[10:11], 1, v[5:6]
	v_mov_b32_e32 v12, s9
	v_add_co_u32_e32 v10, vcc, s8, v10
	v_addc_co_u32_e32 v11, vcc, v12, v11, vcc
	global_load_ushort v6, v[10:11], off
	v_add_u32_e32 v9, 1, v9
	v_cmp_ge_i32_e32 vcc, v9, v7
	v_add_u32_e32 v5, 1, v5
	s_or_b64 s[16:17], vcc, s[16:17]
	s_waitcnt vmcnt(0)
	v_lshlrev_b32_e32 v6, 16, v6
	v_add_f32_e32 v1, v1, v6
	s_andn2_b64 exec, exec, s[16:17]
	s_cbranch_execnz .LBB18_14
; %bb.15:                               ;   in Loop: Header=BB18_12 Depth=1
	s_or_b64 exec, exec, s[16:17]
	s_branch .LBB18_11
.LBB18_16:
	s_endpgm
	.section	.rodata,"a",@progbits
	.p2align	6, 0x0
	.amdhsa_kernel _ZN2at6native12_GLOBAL__N_137upsample_nearest1d_backward_out_frameIN3c108BFloat16EfXadL_ZNS0_46nearest_neighbor_exact_bw_compute_source_indexEfiiEEEEvPKT_mmmmPS5_f
		.amdhsa_group_segment_fixed_size 0
		.amdhsa_private_segment_fixed_size 0
		.amdhsa_kernarg_size 312
		.amdhsa_user_sgpr_count 6
		.amdhsa_user_sgpr_private_segment_buffer 1
		.amdhsa_user_sgpr_dispatch_ptr 0
		.amdhsa_user_sgpr_queue_ptr 0
		.amdhsa_user_sgpr_kernarg_segment_ptr 1
		.amdhsa_user_sgpr_dispatch_id 0
		.amdhsa_user_sgpr_flat_scratch_init 0
		.amdhsa_user_sgpr_private_segment_size 0
		.amdhsa_uses_dynamic_stack 0
		.amdhsa_system_sgpr_private_segment_wavefront_offset 0
		.amdhsa_system_sgpr_workgroup_id_x 1
		.amdhsa_system_sgpr_workgroup_id_y 0
		.amdhsa_system_sgpr_workgroup_id_z 0
		.amdhsa_system_sgpr_workgroup_info 0
		.amdhsa_system_vgpr_workitem_id 0
		.amdhsa_next_free_vgpr 13
		.amdhsa_next_free_sgpr 26
		.amdhsa_reserve_vcc 1
		.amdhsa_reserve_flat_scratch 0
		.amdhsa_float_round_mode_32 0
		.amdhsa_float_round_mode_16_64 0
		.amdhsa_float_denorm_mode_32 3
		.amdhsa_float_denorm_mode_16_64 3
		.amdhsa_dx10_clamp 1
		.amdhsa_ieee_mode 1
		.amdhsa_fp16_overflow 0
		.amdhsa_exception_fp_ieee_invalid_op 0
		.amdhsa_exception_fp_denorm_src 0
		.amdhsa_exception_fp_ieee_div_zero 0
		.amdhsa_exception_fp_ieee_overflow 0
		.amdhsa_exception_fp_ieee_underflow 0
		.amdhsa_exception_fp_ieee_inexact 0
		.amdhsa_exception_int_div_zero 0
	.end_amdhsa_kernel
	.section	.text._ZN2at6native12_GLOBAL__N_137upsample_nearest1d_backward_out_frameIN3c108BFloat16EfXadL_ZNS0_46nearest_neighbor_exact_bw_compute_source_indexEfiiEEEEvPKT_mmmmPS5_f,"axG",@progbits,_ZN2at6native12_GLOBAL__N_137upsample_nearest1d_backward_out_frameIN3c108BFloat16EfXadL_ZNS0_46nearest_neighbor_exact_bw_compute_source_indexEfiiEEEEvPKT_mmmmPS5_f,comdat
.Lfunc_end18:
	.size	_ZN2at6native12_GLOBAL__N_137upsample_nearest1d_backward_out_frameIN3c108BFloat16EfXadL_ZNS0_46nearest_neighbor_exact_bw_compute_source_indexEfiiEEEEvPKT_mmmmPS5_f, .Lfunc_end18-_ZN2at6native12_GLOBAL__N_137upsample_nearest1d_backward_out_frameIN3c108BFloat16EfXadL_ZNS0_46nearest_neighbor_exact_bw_compute_source_indexEfiiEEEEvPKT_mmmmPS5_f
                                        ; -- End function
	.set _ZN2at6native12_GLOBAL__N_137upsample_nearest1d_backward_out_frameIN3c108BFloat16EfXadL_ZNS0_46nearest_neighbor_exact_bw_compute_source_indexEfiiEEEEvPKT_mmmmPS5_f.num_vgpr, 13
	.set _ZN2at6native12_GLOBAL__N_137upsample_nearest1d_backward_out_frameIN3c108BFloat16EfXadL_ZNS0_46nearest_neighbor_exact_bw_compute_source_indexEfiiEEEEvPKT_mmmmPS5_f.num_agpr, 0
	.set _ZN2at6native12_GLOBAL__N_137upsample_nearest1d_backward_out_frameIN3c108BFloat16EfXadL_ZNS0_46nearest_neighbor_exact_bw_compute_source_indexEfiiEEEEvPKT_mmmmPS5_f.numbered_sgpr, 26
	.set _ZN2at6native12_GLOBAL__N_137upsample_nearest1d_backward_out_frameIN3c108BFloat16EfXadL_ZNS0_46nearest_neighbor_exact_bw_compute_source_indexEfiiEEEEvPKT_mmmmPS5_f.num_named_barrier, 0
	.set _ZN2at6native12_GLOBAL__N_137upsample_nearest1d_backward_out_frameIN3c108BFloat16EfXadL_ZNS0_46nearest_neighbor_exact_bw_compute_source_indexEfiiEEEEvPKT_mmmmPS5_f.private_seg_size, 0
	.set _ZN2at6native12_GLOBAL__N_137upsample_nearest1d_backward_out_frameIN3c108BFloat16EfXadL_ZNS0_46nearest_neighbor_exact_bw_compute_source_indexEfiiEEEEvPKT_mmmmPS5_f.uses_vcc, 1
	.set _ZN2at6native12_GLOBAL__N_137upsample_nearest1d_backward_out_frameIN3c108BFloat16EfXadL_ZNS0_46nearest_neighbor_exact_bw_compute_source_indexEfiiEEEEvPKT_mmmmPS5_f.uses_flat_scratch, 0
	.set _ZN2at6native12_GLOBAL__N_137upsample_nearest1d_backward_out_frameIN3c108BFloat16EfXadL_ZNS0_46nearest_neighbor_exact_bw_compute_source_indexEfiiEEEEvPKT_mmmmPS5_f.has_dyn_sized_stack, 0
	.set _ZN2at6native12_GLOBAL__N_137upsample_nearest1d_backward_out_frameIN3c108BFloat16EfXadL_ZNS0_46nearest_neighbor_exact_bw_compute_source_indexEfiiEEEEvPKT_mmmmPS5_f.has_recursion, 0
	.set _ZN2at6native12_GLOBAL__N_137upsample_nearest1d_backward_out_frameIN3c108BFloat16EfXadL_ZNS0_46nearest_neighbor_exact_bw_compute_source_indexEfiiEEEEvPKT_mmmmPS5_f.has_indirect_call, 0
	.section	.AMDGPU.csdata,"",@progbits
; Kernel info:
; codeLenInByte = 1756
; TotalNumSgprs: 30
; NumVgprs: 13
; ScratchSize: 0
; MemoryBound: 0
; FloatMode: 240
; IeeeMode: 1
; LDSByteSize: 0 bytes/workgroup (compile time only)
; SGPRBlocks: 3
; VGPRBlocks: 3
; NumSGPRsForWavesPerEU: 30
; NumVGPRsForWavesPerEU: 13
; Occupancy: 10
; WaveLimiterHint : 0
; COMPUTE_PGM_RSRC2:SCRATCH_EN: 0
; COMPUTE_PGM_RSRC2:USER_SGPR: 6
; COMPUTE_PGM_RSRC2:TRAP_HANDLER: 0
; COMPUTE_PGM_RSRC2:TGID_X_EN: 1
; COMPUTE_PGM_RSRC2:TGID_Y_EN: 0
; COMPUTE_PGM_RSRC2:TGID_Z_EN: 0
; COMPUTE_PGM_RSRC2:TIDIG_COMP_CNT: 0
	.section	.text._ZN2at6native12_GLOBAL__N_137upsample_nearest1d_backward_out_frameIhlXadL_ZNS0_46nearest_neighbor_exact_bw_compute_source_indexEfiiEEEEvPKT_mmmmPS3_f,"axG",@progbits,_ZN2at6native12_GLOBAL__N_137upsample_nearest1d_backward_out_frameIhlXadL_ZNS0_46nearest_neighbor_exact_bw_compute_source_indexEfiiEEEEvPKT_mmmmPS3_f,comdat
	.globl	_ZN2at6native12_GLOBAL__N_137upsample_nearest1d_backward_out_frameIhlXadL_ZNS0_46nearest_neighbor_exact_bw_compute_source_indexEfiiEEEEvPKT_mmmmPS3_f ; -- Begin function _ZN2at6native12_GLOBAL__N_137upsample_nearest1d_backward_out_frameIhlXadL_ZNS0_46nearest_neighbor_exact_bw_compute_source_indexEfiiEEEEvPKT_mmmmPS3_f
	.p2align	8
	.type	_ZN2at6native12_GLOBAL__N_137upsample_nearest1d_backward_out_frameIhlXadL_ZNS0_46nearest_neighbor_exact_bw_compute_source_indexEfiiEEEEvPKT_mmmmPS3_f,@function
_ZN2at6native12_GLOBAL__N_137upsample_nearest1d_backward_out_frameIhlXadL_ZNS0_46nearest_neighbor_exact_bw_compute_source_indexEfiiEEEEvPKT_mmmmPS3_f: ; @_ZN2at6native12_GLOBAL__N_137upsample_nearest1d_backward_out_frameIhlXadL_ZNS0_46nearest_neighbor_exact_bw_compute_source_indexEfiiEEEEvPKT_mmmmPS3_f
; %bb.0:
	s_load_dword s0, s[4:5], 0x44
	s_load_dwordx4 s[16:19], s[4:5], 0x20
	s_load_dwordx8 s[8:15], s[4:5], 0x0
	s_waitcnt lgkmcnt(0)
	s_and_b32 s0, s0, 0xffff
	s_mul_i32 s6, s6, s0
	s_mul_i32 s0, s16, s13
	s_mul_hi_u32 s1, s16, s12
	v_add_u32_e32 v0, s6, v0
	s_add_i32 s0, s1, s0
	s_mul_i32 s1, s17, s12
	v_ashrrev_i32_e32 v1, 31, v0
	s_add_i32 s3, s0, s1
	s_mul_i32 s2, s16, s12
	v_cmp_gt_u64_e32 vcc, s[2:3], v[0:1]
	s_and_saveexec_b64 s[0:1], vcc
	s_cbranch_execz .LBB19_16
; %bb.1:
	v_or_b32_e32 v3, s17, v1
	v_mov_b32_e32 v2, 0
	v_cmp_ne_u64_e32 vcc, 0, v[2:3]
                                        ; implicit-def: $vgpr2_vgpr3
	s_and_saveexec_b64 s[0:1], vcc
	s_xor_b64 s[6:7], exec, s[0:1]
	s_cbranch_execz .LBB19_3
; %bb.2:
	v_cvt_f32_u32_e32 v2, s16
	v_cvt_f32_u32_e32 v3, s17
	s_sub_u32 s3, 0, s16
	s_subb_u32 s15, 0, s17
	v_madmk_f32 v2, v3, 0x4f800000, v2
	v_rcp_f32_e32 v2, v2
	v_mul_f32_e32 v2, 0x5f7ffffc, v2
	v_mul_f32_e32 v3, 0x2f800000, v2
	v_trunc_f32_e32 v3, v3
	v_madmk_f32 v2, v3, 0xcf800000, v2
	v_cvt_u32_f32_e32 v3, v3
	v_cvt_u32_f32_e32 v2, v2
	v_readfirstlane_b32 s20, v3
	v_readfirstlane_b32 s0, v2
	s_mul_i32 s1, s3, s20
	s_mul_hi_u32 s22, s3, s0
	s_mul_i32 s21, s15, s0
	s_add_i32 s1, s22, s1
	s_mul_i32 s23, s3, s0
	s_add_i32 s1, s1, s21
	s_mul_i32 s22, s0, s1
	s_mul_hi_u32 s24, s0, s23
	s_mul_hi_u32 s21, s0, s1
	s_add_u32 s22, s24, s22
	s_addc_u32 s21, 0, s21
	s_mul_hi_u32 s25, s20, s23
	s_mul_i32 s23, s20, s23
	s_add_u32 s22, s22, s23
	s_mul_hi_u32 s24, s20, s1
	s_addc_u32 s21, s21, s25
	s_addc_u32 s22, s24, 0
	s_mul_i32 s1, s20, s1
	s_add_u32 s1, s21, s1
	s_addc_u32 s21, 0, s22
	s_add_u32 s22, s0, s1
	s_cselect_b64 s[0:1], -1, 0
	s_cmp_lg_u64 s[0:1], 0
	s_addc_u32 s20, s20, s21
	s_mul_i32 s0, s3, s20
	s_mul_hi_u32 s1, s3, s22
	s_add_i32 s0, s1, s0
	s_mul_i32 s15, s15, s22
	s_add_i32 s0, s0, s15
	s_mul_i32 s3, s3, s22
	s_mul_hi_u32 s15, s20, s3
	s_mul_i32 s21, s20, s3
	s_mul_i32 s24, s22, s0
	s_mul_hi_u32 s3, s22, s3
	s_mul_hi_u32 s23, s22, s0
	s_add_u32 s3, s3, s24
	s_addc_u32 s23, 0, s23
	s_add_u32 s3, s3, s21
	s_mul_hi_u32 s1, s20, s0
	s_addc_u32 s3, s23, s15
	s_addc_u32 s1, s1, 0
	s_mul_i32 s0, s20, s0
	s_add_u32 s0, s3, s0
	s_addc_u32 s3, 0, s1
	s_add_u32 s15, s22, s0
	s_cselect_b64 s[0:1], -1, 0
	s_cmp_lg_u64 s[0:1], 0
	s_addc_u32 s3, s20, s3
	v_mad_u64_u32 v[2:3], s[0:1], v0, s3, 0
	v_mul_hi_u32 v4, v0, s15
	v_add_co_u32_e32 v6, vcc, v4, v2
	v_addc_co_u32_e32 v7, vcc, 0, v3, vcc
	v_mad_u64_u32 v[2:3], s[0:1], v1, s15, 0
	v_mad_u64_u32 v[4:5], s[0:1], v1, s3, 0
	v_add_co_u32_e32 v2, vcc, v6, v2
	v_addc_co_u32_e32 v2, vcc, v7, v3, vcc
	v_addc_co_u32_e32 v3, vcc, 0, v5, vcc
	v_add_co_u32_e32 v4, vcc, v2, v4
	v_addc_co_u32_e32 v5, vcc, 0, v3, vcc
	v_mul_lo_u32 v6, s17, v4
	v_mul_lo_u32 v7, s16, v5
	v_mad_u64_u32 v[2:3], s[0:1], s16, v4, 0
	v_add3_u32 v3, v3, v7, v6
	v_sub_u32_e32 v6, v1, v3
	v_mov_b32_e32 v7, s17
	v_sub_co_u32_e32 v2, vcc, v0, v2
	v_subb_co_u32_e64 v6, s[0:1], v6, v7, vcc
	v_subrev_co_u32_e64 v7, s[0:1], s16, v2
	v_subbrev_co_u32_e64 v6, s[0:1], 0, v6, s[0:1]
	v_cmp_le_u32_e64 s[0:1], s17, v6
	v_cndmask_b32_e64 v8, 0, -1, s[0:1]
	v_cmp_le_u32_e64 s[0:1], s16, v7
	v_cndmask_b32_e64 v7, 0, -1, s[0:1]
	v_cmp_eq_u32_e64 s[0:1], s17, v6
	v_cndmask_b32_e64 v6, v8, v7, s[0:1]
	v_add_co_u32_e64 v7, s[0:1], 2, v4
	v_subb_co_u32_e32 v1, vcc, v1, v3, vcc
	v_addc_co_u32_e64 v8, s[0:1], 0, v5, s[0:1]
	v_cmp_le_u32_e32 vcc, s17, v1
	v_add_co_u32_e64 v9, s[0:1], 1, v4
	v_cndmask_b32_e64 v3, 0, -1, vcc
	v_cmp_le_u32_e32 vcc, s16, v2
	v_addc_co_u32_e64 v10, s[0:1], 0, v5, s[0:1]
	v_cndmask_b32_e64 v2, 0, -1, vcc
	v_cmp_eq_u32_e32 vcc, s17, v1
	v_cmp_ne_u32_e64 s[0:1], 0, v6
	v_cndmask_b32_e32 v1, v3, v2, vcc
	v_cndmask_b32_e64 v6, v10, v8, s[0:1]
	v_cmp_ne_u32_e32 vcc, 0, v1
	v_cndmask_b32_e64 v1, v9, v7, s[0:1]
	v_cndmask_b32_e32 v3, v5, v6, vcc
	v_cndmask_b32_e32 v2, v4, v1, vcc
.LBB19_3:
	s_andn2_saveexec_b64 s[0:1], s[6:7]
	s_cbranch_execz .LBB19_5
; %bb.4:
	v_cvt_f32_u32_e32 v1, s16
	s_sub_i32 s3, 0, s16
	v_rcp_iflag_f32_e32 v1, v1
	v_mul_f32_e32 v1, 0x4f7ffffe, v1
	v_cvt_u32_f32_e32 v1, v1
	v_mul_lo_u32 v2, s3, v1
	v_mul_hi_u32 v2, v1, v2
	v_add_u32_e32 v1, v1, v2
	v_mul_hi_u32 v1, v0, v1
	v_mul_lo_u32 v2, v1, s16
	v_add_u32_e32 v3, 1, v1
	v_sub_u32_e32 v2, v0, v2
	v_subrev_u32_e32 v4, s16, v2
	v_cmp_le_u32_e32 vcc, s16, v2
	v_cndmask_b32_e32 v2, v2, v4, vcc
	v_cndmask_b32_e32 v1, v1, v3, vcc
	v_add_u32_e32 v3, 1, v1
	v_cmp_le_u32_e32 vcc, s16, v2
	v_cndmask_b32_e32 v2, v1, v3, vcc
	v_mov_b32_e32 v3, 0
.LBB19_5:
	s_or_b64 exec, exec, s[0:1]
	v_or_b32_e32 v5, s13, v3
	v_mov_b32_e32 v4, 0
	v_cmp_ne_u64_e32 vcc, 0, v[4:5]
                                        ; implicit-def: $vgpr4_vgpr5
	s_and_saveexec_b64 s[0:1], vcc
	s_xor_b64 s[6:7], exec, s[0:1]
	s_cbranch_execnz .LBB19_8
; %bb.6:
	s_andn2_saveexec_b64 s[0:1], s[6:7]
	s_cbranch_execnz .LBB19_9
.LBB19_7:
	s_or_b64 exec, exec, s[0:1]
	s_cmp_eq_u64 s[10:11], 0
	s_mov_b64 s[6:7], 0
	s_cbranch_scc0 .LBB19_10
	s_branch .LBB19_16
.LBB19_8:
	v_cvt_f32_u32_e32 v1, s12
	v_cvt_f32_u32_e32 v4, s13
	s_sub_u32 s3, 0, s12
	s_subb_u32 s15, 0, s13
	v_madmk_f32 v1, v4, 0x4f800000, v1
	v_rcp_f32_e32 v1, v1
	v_mul_f32_e32 v1, 0x5f7ffffc, v1
	v_mul_f32_e32 v4, 0x2f800000, v1
	v_trunc_f32_e32 v4, v4
	v_madmk_f32 v1, v4, 0xcf800000, v1
	v_cvt_u32_f32_e32 v4, v4
	v_cvt_u32_f32_e32 v1, v1
	v_readfirstlane_b32 s17, v4
	v_readfirstlane_b32 s0, v1
	s_mul_i32 s1, s3, s17
	s_mul_hi_u32 s21, s3, s0
	s_mul_i32 s20, s15, s0
	s_add_i32 s1, s21, s1
	s_mul_i32 s22, s3, s0
	s_add_i32 s1, s1, s20
	s_mul_i32 s21, s0, s1
	s_mul_hi_u32 s23, s0, s22
	s_mul_hi_u32 s20, s0, s1
	s_add_u32 s21, s23, s21
	s_addc_u32 s20, 0, s20
	s_mul_hi_u32 s24, s17, s22
	s_mul_i32 s22, s17, s22
	s_add_u32 s21, s21, s22
	s_mul_hi_u32 s23, s17, s1
	s_addc_u32 s20, s20, s24
	s_addc_u32 s21, s23, 0
	s_mul_i32 s1, s17, s1
	s_add_u32 s1, s20, s1
	s_addc_u32 s20, 0, s21
	s_add_u32 s21, s0, s1
	s_cselect_b64 s[0:1], -1, 0
	s_cmp_lg_u64 s[0:1], 0
	s_addc_u32 s17, s17, s20
	s_mul_i32 s0, s3, s17
	s_mul_hi_u32 s1, s3, s21
	s_add_i32 s0, s1, s0
	s_mul_i32 s15, s15, s21
	s_add_i32 s0, s0, s15
	s_mul_i32 s3, s3, s21
	s_mul_hi_u32 s15, s17, s3
	s_mul_i32 s20, s17, s3
	s_mul_i32 s23, s21, s0
	s_mul_hi_u32 s3, s21, s3
	s_mul_hi_u32 s22, s21, s0
	s_add_u32 s3, s3, s23
	s_addc_u32 s22, 0, s22
	s_add_u32 s3, s3, s20
	s_mul_hi_u32 s1, s17, s0
	s_addc_u32 s3, s22, s15
	s_addc_u32 s1, s1, 0
	s_mul_i32 s0, s17, s0
	s_add_u32 s0, s3, s0
	s_addc_u32 s3, 0, s1
	s_add_u32 s15, s21, s0
	s_cselect_b64 s[0:1], -1, 0
	s_cmp_lg_u64 s[0:1], 0
	s_addc_u32 s3, s17, s3
	v_mad_u64_u32 v[4:5], s[0:1], v2, s3, 0
	v_mul_hi_u32 v1, v2, s15
	v_mad_u64_u32 v[6:7], s[0:1], v3, s3, 0
	v_add_co_u32_e32 v1, vcc, v1, v4
	v_addc_co_u32_e32 v8, vcc, 0, v5, vcc
	v_mad_u64_u32 v[4:5], s[0:1], v3, s15, 0
	v_add_co_u32_e32 v1, vcc, v1, v4
	v_addc_co_u32_e32 v1, vcc, v8, v5, vcc
	v_addc_co_u32_e32 v4, vcc, 0, v7, vcc
	v_add_co_u32_e32 v1, vcc, v1, v6
	v_addc_co_u32_e32 v4, vcc, 0, v4, vcc
	v_mul_lo_u32 v6, s13, v1
	v_mul_lo_u32 v7, s12, v4
	v_mad_u64_u32 v[4:5], s[0:1], s12, v1, 0
	v_add3_u32 v1, v5, v7, v6
	v_sub_u32_e32 v5, v3, v1
	v_mov_b32_e32 v6, s13
	v_sub_co_u32_e32 v4, vcc, v2, v4
	v_subb_co_u32_e64 v5, s[0:1], v5, v6, vcc
	v_subrev_co_u32_e64 v6, s[0:1], s12, v4
	v_subbrev_co_u32_e64 v5, s[0:1], 0, v5, s[0:1]
	v_cmp_le_u32_e64 s[0:1], s13, v5
	v_subb_co_u32_e32 v1, vcc, v3, v1, vcc
	v_cndmask_b32_e64 v7, 0, -1, s[0:1]
	v_cmp_le_u32_e64 s[0:1], s12, v6
	v_cmp_le_u32_e32 vcc, s13, v1
	v_cndmask_b32_e64 v8, 0, -1, s[0:1]
	v_cmp_eq_u32_e64 s[0:1], s13, v5
	v_cndmask_b32_e64 v3, 0, -1, vcc
	v_cmp_le_u32_e32 vcc, s12, v4
	v_cndmask_b32_e64 v5, v7, v8, s[0:1]
	v_cndmask_b32_e64 v8, 0, -1, vcc
	v_cmp_eq_u32_e32 vcc, s13, v1
	v_subrev_co_u32_e64 v7, s[0:1], s12, v6
	v_cndmask_b32_e32 v1, v3, v8, vcc
	v_cmp_ne_u32_e32 vcc, 0, v5
	v_cndmask_b32_e32 v3, v6, v7, vcc
	v_cmp_ne_u32_e32 vcc, 0, v1
	v_cndmask_b32_e32 v4, v4, v3, vcc
	s_andn2_saveexec_b64 s[0:1], s[6:7]
	s_cbranch_execz .LBB19_7
.LBB19_9:
	v_cvt_f32_u32_e32 v1, s12
	s_sub_i32 s3, 0, s12
	v_rcp_iflag_f32_e32 v1, v1
	v_mul_f32_e32 v1, 0x4f7ffffe, v1
	v_cvt_u32_f32_e32 v1, v1
	v_mul_lo_u32 v3, s3, v1
	v_mul_hi_u32 v3, v1, v3
	v_add_u32_e32 v1, v1, v3
	v_mul_hi_u32 v1, v2, v1
	v_mul_lo_u32 v1, v1, s12
	v_sub_u32_e32 v1, v2, v1
	v_subrev_u32_e32 v3, s12, v1
	v_cmp_le_u32_e32 vcc, s12, v1
	v_cndmask_b32_e32 v1, v1, v3, vcc
	v_subrev_u32_e32 v3, s12, v1
	v_cmp_le_u32_e32 vcc, s12, v1
	v_cndmask_b32_e32 v4, v1, v3, vcc
	s_or_b64 exec, exec, s[0:1]
	s_cmp_eq_u64 s[10:11], 0
	s_mov_b64 s[6:7], 0
	s_cbranch_scc1 .LBB19_16
.LBB19_10:
	v_mul_lo_u32 v1, v2, s16
	s_load_dword s0, s[4:5], 0x30
	v_mov_b32_e32 v8, s19
	v_sub_u32_e32 v1, v0, v1
	v_cvt_f32_i32_e32 v2, v1
	v_add_u32_e32 v1, 1, v1
	v_cvt_f32_i32_e32 v1, v1
	s_waitcnt lgkmcnt(0)
	v_fma_f32 v2, s0, v2, -0.5
	v_ceil_f32_e32 v2, v2
	v_fma_f32 v1, s0, v1, -0.5
	v_ceil_f32_e32 v1, v1
	v_cvt_i32_f32_e32 v3, v1
	v_cvt_i32_f32_e32 v2, v2
	v_min_i32_e32 v7, s14, v3
	v_min_i32_e32 v1, s14, v2
	v_cmp_gt_i32_e64 s[0:1], v7, v2
	s_branch .LBB19_12
.LBB19_11:                              ;   in Loop: Header=BB19_12 Depth=1
	s_or_b64 exec, exec, s[4:5]
	v_ashrrev_i32_e32 v3, 31, v0
	v_add_co_u32_e32 v5, vcc, s18, v0
	v_addc_co_u32_e32 v6, vcc, v8, v3, vcc
	s_add_u32 s6, s6, 1
	global_store_byte v[5:6], v2, off
	s_addc_u32 s7, s7, 0
	v_mov_b32_e32 v2, s6
	v_mov_b32_e32 v3, s7
	v_cmp_le_u64_e32 vcc, s[10:11], v[2:3]
	v_add_u32_e32 v0, s2, v0
	s_cbranch_vccnz .LBB19_16
.LBB19_12:                              ; =>This Loop Header: Depth=1
                                        ;     Child Loop BB19_14 Depth 2
	v_mov_b32_e32 v2, 0
	s_and_saveexec_b64 s[4:5], s[0:1]
	s_cbranch_execz .LBB19_11
; %bb.13:                               ;   in Loop: Header=BB19_12 Depth=1
	s_mul_i32 s3, s6, s12
	v_add_u32_e32 v2, s3, v4
	v_mad_u64_u32 v[5:6], s[16:17], v2, s14, v[1:2]
	v_mov_b32_e32 v2, 0
	s_mov_b64 s[16:17], 0
	v_mov_b32_e32 v3, 0
	v_mov_b32_e32 v6, v1
.LBB19_14:                              ;   Parent Loop BB19_12 Depth=1
                                        ; =>  This Inner Loop Header: Depth=2
	v_ashrrev_i32_e32 v10, 31, v5
	v_mov_b32_e32 v11, s9
	v_add_co_u32_e32 v9, vcc, s8, v5
	v_addc_co_u32_e32 v10, vcc, v11, v10, vcc
	global_load_ubyte v9, v[9:10], off
	v_add_u32_e32 v6, 1, v6
	v_cmp_ge_i32_e32 vcc, v6, v7
	s_or_b64 s[16:17], vcc, s[16:17]
	v_add_u32_e32 v5, 1, v5
	s_waitcnt vmcnt(0)
	v_and_b32_e32 v9, 0xffff, v9
	v_add_co_u32_e32 v2, vcc, v2, v9
	v_addc_co_u32_e32 v3, vcc, 0, v3, vcc
	s_andn2_b64 exec, exec, s[16:17]
	s_cbranch_execnz .LBB19_14
; %bb.15:                               ;   in Loop: Header=BB19_12 Depth=1
	s_or_b64 exec, exec, s[16:17]
	s_branch .LBB19_11
.LBB19_16:
	s_endpgm
	.section	.rodata,"a",@progbits
	.p2align	6, 0x0
	.amdhsa_kernel _ZN2at6native12_GLOBAL__N_137upsample_nearest1d_backward_out_frameIhlXadL_ZNS0_46nearest_neighbor_exact_bw_compute_source_indexEfiiEEEEvPKT_mmmmPS3_f
		.amdhsa_group_segment_fixed_size 0
		.amdhsa_private_segment_fixed_size 0
		.amdhsa_kernarg_size 312
		.amdhsa_user_sgpr_count 6
		.amdhsa_user_sgpr_private_segment_buffer 1
		.amdhsa_user_sgpr_dispatch_ptr 0
		.amdhsa_user_sgpr_queue_ptr 0
		.amdhsa_user_sgpr_kernarg_segment_ptr 1
		.amdhsa_user_sgpr_dispatch_id 0
		.amdhsa_user_sgpr_flat_scratch_init 0
		.amdhsa_user_sgpr_private_segment_size 0
		.amdhsa_uses_dynamic_stack 0
		.amdhsa_system_sgpr_private_segment_wavefront_offset 0
		.amdhsa_system_sgpr_workgroup_id_x 1
		.amdhsa_system_sgpr_workgroup_id_y 0
		.amdhsa_system_sgpr_workgroup_id_z 0
		.amdhsa_system_sgpr_workgroup_info 0
		.amdhsa_system_vgpr_workitem_id 0
		.amdhsa_next_free_vgpr 12
		.amdhsa_next_free_sgpr 26
		.amdhsa_reserve_vcc 1
		.amdhsa_reserve_flat_scratch 0
		.amdhsa_float_round_mode_32 0
		.amdhsa_float_round_mode_16_64 0
		.amdhsa_float_denorm_mode_32 3
		.amdhsa_float_denorm_mode_16_64 3
		.amdhsa_dx10_clamp 1
		.amdhsa_ieee_mode 1
		.amdhsa_fp16_overflow 0
		.amdhsa_exception_fp_ieee_invalid_op 0
		.amdhsa_exception_fp_denorm_src 0
		.amdhsa_exception_fp_ieee_div_zero 0
		.amdhsa_exception_fp_ieee_overflow 0
		.amdhsa_exception_fp_ieee_underflow 0
		.amdhsa_exception_fp_ieee_inexact 0
		.amdhsa_exception_int_div_zero 0
	.end_amdhsa_kernel
	.section	.text._ZN2at6native12_GLOBAL__N_137upsample_nearest1d_backward_out_frameIhlXadL_ZNS0_46nearest_neighbor_exact_bw_compute_source_indexEfiiEEEEvPKT_mmmmPS3_f,"axG",@progbits,_ZN2at6native12_GLOBAL__N_137upsample_nearest1d_backward_out_frameIhlXadL_ZNS0_46nearest_neighbor_exact_bw_compute_source_indexEfiiEEEEvPKT_mmmmPS3_f,comdat
.Lfunc_end19:
	.size	_ZN2at6native12_GLOBAL__N_137upsample_nearest1d_backward_out_frameIhlXadL_ZNS0_46nearest_neighbor_exact_bw_compute_source_indexEfiiEEEEvPKT_mmmmPS3_f, .Lfunc_end19-_ZN2at6native12_GLOBAL__N_137upsample_nearest1d_backward_out_frameIhlXadL_ZNS0_46nearest_neighbor_exact_bw_compute_source_indexEfiiEEEEvPKT_mmmmPS3_f
                                        ; -- End function
	.set _ZN2at6native12_GLOBAL__N_137upsample_nearest1d_backward_out_frameIhlXadL_ZNS0_46nearest_neighbor_exact_bw_compute_source_indexEfiiEEEEvPKT_mmmmPS3_f.num_vgpr, 12
	.set _ZN2at6native12_GLOBAL__N_137upsample_nearest1d_backward_out_frameIhlXadL_ZNS0_46nearest_neighbor_exact_bw_compute_source_indexEfiiEEEEvPKT_mmmmPS3_f.num_agpr, 0
	.set _ZN2at6native12_GLOBAL__N_137upsample_nearest1d_backward_out_frameIhlXadL_ZNS0_46nearest_neighbor_exact_bw_compute_source_indexEfiiEEEEvPKT_mmmmPS3_f.numbered_sgpr, 26
	.set _ZN2at6native12_GLOBAL__N_137upsample_nearest1d_backward_out_frameIhlXadL_ZNS0_46nearest_neighbor_exact_bw_compute_source_indexEfiiEEEEvPKT_mmmmPS3_f.num_named_barrier, 0
	.set _ZN2at6native12_GLOBAL__N_137upsample_nearest1d_backward_out_frameIhlXadL_ZNS0_46nearest_neighbor_exact_bw_compute_source_indexEfiiEEEEvPKT_mmmmPS3_f.private_seg_size, 0
	.set _ZN2at6native12_GLOBAL__N_137upsample_nearest1d_backward_out_frameIhlXadL_ZNS0_46nearest_neighbor_exact_bw_compute_source_indexEfiiEEEEvPKT_mmmmPS3_f.uses_vcc, 1
	.set _ZN2at6native12_GLOBAL__N_137upsample_nearest1d_backward_out_frameIhlXadL_ZNS0_46nearest_neighbor_exact_bw_compute_source_indexEfiiEEEEvPKT_mmmmPS3_f.uses_flat_scratch, 0
	.set _ZN2at6native12_GLOBAL__N_137upsample_nearest1d_backward_out_frameIhlXadL_ZNS0_46nearest_neighbor_exact_bw_compute_source_indexEfiiEEEEvPKT_mmmmPS3_f.has_dyn_sized_stack, 0
	.set _ZN2at6native12_GLOBAL__N_137upsample_nearest1d_backward_out_frameIhlXadL_ZNS0_46nearest_neighbor_exact_bw_compute_source_indexEfiiEEEEvPKT_mmmmPS3_f.has_recursion, 0
	.set _ZN2at6native12_GLOBAL__N_137upsample_nearest1d_backward_out_frameIhlXadL_ZNS0_46nearest_neighbor_exact_bw_compute_source_indexEfiiEEEEvPKT_mmmmPS3_f.has_indirect_call, 0
	.section	.AMDGPU.csdata,"",@progbits
; Kernel info:
; codeLenInByte = 1712
; TotalNumSgprs: 30
; NumVgprs: 12
; ScratchSize: 0
; MemoryBound: 0
; FloatMode: 240
; IeeeMode: 1
; LDSByteSize: 0 bytes/workgroup (compile time only)
; SGPRBlocks: 3
; VGPRBlocks: 2
; NumSGPRsForWavesPerEU: 30
; NumVGPRsForWavesPerEU: 12
; Occupancy: 10
; WaveLimiterHint : 0
; COMPUTE_PGM_RSRC2:SCRATCH_EN: 0
; COMPUTE_PGM_RSRC2:USER_SGPR: 6
; COMPUTE_PGM_RSRC2:TRAP_HANDLER: 0
; COMPUTE_PGM_RSRC2:TGID_X_EN: 1
; COMPUTE_PGM_RSRC2:TGID_Y_EN: 0
; COMPUTE_PGM_RSRC2:TGID_Z_EN: 0
; COMPUTE_PGM_RSRC2:TIDIG_COMP_CNT: 0
	.section	.AMDGPU.gpr_maximums,"",@progbits
	.set amdgpu.max_num_vgpr, 0
	.set amdgpu.max_num_agpr, 0
	.set amdgpu.max_num_sgpr, 0
	.section	.AMDGPU.csdata,"",@progbits
	.type	__hip_cuid_bfc36415ddcbef90,@object ; @__hip_cuid_bfc36415ddcbef90
	.section	.bss,"aw",@nobits
	.globl	__hip_cuid_bfc36415ddcbef90
__hip_cuid_bfc36415ddcbef90:
	.byte	0                               ; 0x0
	.size	__hip_cuid_bfc36415ddcbef90, 1

	.ident	"AMD clang version 22.0.0git (https://github.com/RadeonOpenCompute/llvm-project roc-7.2.4 26084 f58b06dce1f9c15707c5f808fd002e18c2accf7e)"
	.section	".note.GNU-stack","",@progbits
	.addrsig
	.addrsig_sym __hip_cuid_bfc36415ddcbef90
	.amdgpu_metadata
---
amdhsa.kernels:
  - .args:
      - .address_space:  global
        .offset:         0
        .size:           8
        .value_kind:     global_buffer
      - .offset:         8
        .size:           8
        .value_kind:     by_value
      - .offset:         16
        .size:           8
        .value_kind:     by_value
      - .offset:         24
        .size:           8
        .value_kind:     by_value
      - .offset:         32
        .size:           8
        .value_kind:     by_value
      - .address_space:  global
        .offset:         40
        .size:           8
        .value_kind:     global_buffer
      - .offset:         48
        .size:           4
        .value_kind:     by_value
      - .offset:         56
        .size:           4
        .value_kind:     hidden_block_count_x
      - .offset:         60
        .size:           4
        .value_kind:     hidden_block_count_y
      - .offset:         64
        .size:           4
        .value_kind:     hidden_block_count_z
      - .offset:         68
        .size:           2
        .value_kind:     hidden_group_size_x
      - .offset:         70
        .size:           2
        .value_kind:     hidden_group_size_y
      - .offset:         72
        .size:           2
        .value_kind:     hidden_group_size_z
      - .offset:         74
        .size:           2
        .value_kind:     hidden_remainder_x
      - .offset:         76
        .size:           2
        .value_kind:     hidden_remainder_y
      - .offset:         78
        .size:           2
        .value_kind:     hidden_remainder_z
      - .offset:         96
        .size:           8
        .value_kind:     hidden_global_offset_x
      - .offset:         104
        .size:           8
        .value_kind:     hidden_global_offset_y
      - .offset:         112
        .size:           8
        .value_kind:     hidden_global_offset_z
      - .offset:         120
        .size:           2
        .value_kind:     hidden_grid_dims
    .group_segment_fixed_size: 0
    .kernarg_segment_align: 8
    .kernarg_segment_size: 312
    .language:       OpenCL C
    .language_version:
      - 2
      - 0
    .max_flat_workgroup_size: 1024
    .name:           _ZN2at6native12_GLOBAL__N_128upsample_nearest1d_out_frameIdXadL_ZNS0_37nearest_neighbor_compute_source_indexEfiiEEEEvPKT_mmmmPS3_f
    .private_segment_fixed_size: 0
    .sgpr_count:     31
    .sgpr_spill_count: 0
    .symbol:         _ZN2at6native12_GLOBAL__N_128upsample_nearest1d_out_frameIdXadL_ZNS0_37nearest_neighbor_compute_source_indexEfiiEEEEvPKT_mmmmPS3_f.kd
    .uniform_work_group_size: 1
    .uses_dynamic_stack: false
    .vgpr_count:     11
    .vgpr_spill_count: 0
    .wavefront_size: 64
  - .args:
      - .address_space:  global
        .offset:         0
        .size:           8
        .value_kind:     global_buffer
      - .offset:         8
        .size:           8
        .value_kind:     by_value
      - .offset:         16
        .size:           8
        .value_kind:     by_value
      - .offset:         24
        .size:           8
        .value_kind:     by_value
      - .offset:         32
        .size:           8
        .value_kind:     by_value
      - .address_space:  global
        .offset:         40
        .size:           8
        .value_kind:     global_buffer
      - .offset:         48
        .size:           4
        .value_kind:     by_value
      - .offset:         56
        .size:           4
        .value_kind:     hidden_block_count_x
      - .offset:         60
        .size:           4
        .value_kind:     hidden_block_count_y
      - .offset:         64
        .size:           4
        .value_kind:     hidden_block_count_z
      - .offset:         68
        .size:           2
        .value_kind:     hidden_group_size_x
      - .offset:         70
        .size:           2
        .value_kind:     hidden_group_size_y
      - .offset:         72
        .size:           2
        .value_kind:     hidden_group_size_z
      - .offset:         74
        .size:           2
        .value_kind:     hidden_remainder_x
      - .offset:         76
        .size:           2
        .value_kind:     hidden_remainder_y
      - .offset:         78
        .size:           2
        .value_kind:     hidden_remainder_z
      - .offset:         96
        .size:           8
        .value_kind:     hidden_global_offset_x
      - .offset:         104
        .size:           8
        .value_kind:     hidden_global_offset_y
      - .offset:         112
        .size:           8
        .value_kind:     hidden_global_offset_z
      - .offset:         120
        .size:           2
        .value_kind:     hidden_grid_dims
    .group_segment_fixed_size: 0
    .kernarg_segment_align: 8
    .kernarg_segment_size: 312
    .language:       OpenCL C
    .language_version:
      - 2
      - 0
    .max_flat_workgroup_size: 1024
    .name:           _ZN2at6native12_GLOBAL__N_128upsample_nearest1d_out_frameIfXadL_ZNS0_37nearest_neighbor_compute_source_indexEfiiEEEEvPKT_mmmmPS3_f
    .private_segment_fixed_size: 0
    .sgpr_count:     31
    .sgpr_spill_count: 0
    .symbol:         _ZN2at6native12_GLOBAL__N_128upsample_nearest1d_out_frameIfXadL_ZNS0_37nearest_neighbor_compute_source_indexEfiiEEEEvPKT_mmmmPS3_f.kd
    .uniform_work_group_size: 1
    .uses_dynamic_stack: false
    .vgpr_count:     11
    .vgpr_spill_count: 0
    .wavefront_size: 64
  - .args:
      - .address_space:  global
        .offset:         0
        .size:           8
        .value_kind:     global_buffer
      - .offset:         8
        .size:           8
        .value_kind:     by_value
      - .offset:         16
        .size:           8
        .value_kind:     by_value
      - .offset:         24
        .size:           8
        .value_kind:     by_value
      - .offset:         32
        .size:           8
        .value_kind:     by_value
      - .address_space:  global
        .offset:         40
        .size:           8
        .value_kind:     global_buffer
      - .offset:         48
        .size:           4
        .value_kind:     by_value
      - .offset:         56
        .size:           4
        .value_kind:     hidden_block_count_x
      - .offset:         60
        .size:           4
        .value_kind:     hidden_block_count_y
      - .offset:         64
        .size:           4
        .value_kind:     hidden_block_count_z
      - .offset:         68
        .size:           2
        .value_kind:     hidden_group_size_x
      - .offset:         70
        .size:           2
        .value_kind:     hidden_group_size_y
      - .offset:         72
        .size:           2
        .value_kind:     hidden_group_size_z
      - .offset:         74
        .size:           2
        .value_kind:     hidden_remainder_x
      - .offset:         76
        .size:           2
        .value_kind:     hidden_remainder_y
      - .offset:         78
        .size:           2
        .value_kind:     hidden_remainder_z
      - .offset:         96
        .size:           8
        .value_kind:     hidden_global_offset_x
      - .offset:         104
        .size:           8
        .value_kind:     hidden_global_offset_y
      - .offset:         112
        .size:           8
        .value_kind:     hidden_global_offset_z
      - .offset:         120
        .size:           2
        .value_kind:     hidden_grid_dims
    .group_segment_fixed_size: 0
    .kernarg_segment_align: 8
    .kernarg_segment_size: 312
    .language:       OpenCL C
    .language_version:
      - 2
      - 0
    .max_flat_workgroup_size: 1024
    .name:           _ZN2at6native12_GLOBAL__N_128upsample_nearest1d_out_frameIN3c104HalfEXadL_ZNS0_37nearest_neighbor_compute_source_indexEfiiEEEEvPKT_mmmmPS5_f
    .private_segment_fixed_size: 0
    .sgpr_count:     31
    .sgpr_spill_count: 0
    .symbol:         _ZN2at6native12_GLOBAL__N_128upsample_nearest1d_out_frameIN3c104HalfEXadL_ZNS0_37nearest_neighbor_compute_source_indexEfiiEEEEvPKT_mmmmPS5_f.kd
    .uniform_work_group_size: 1
    .uses_dynamic_stack: false
    .vgpr_count:     11
    .vgpr_spill_count: 0
    .wavefront_size: 64
  - .args:
      - .address_space:  global
        .offset:         0
        .size:           8
        .value_kind:     global_buffer
      - .offset:         8
        .size:           8
        .value_kind:     by_value
      - .offset:         16
        .size:           8
        .value_kind:     by_value
      - .offset:         24
        .size:           8
        .value_kind:     by_value
      - .offset:         32
        .size:           8
        .value_kind:     by_value
      - .address_space:  global
        .offset:         40
        .size:           8
        .value_kind:     global_buffer
      - .offset:         48
        .size:           4
        .value_kind:     by_value
      - .offset:         56
        .size:           4
        .value_kind:     hidden_block_count_x
      - .offset:         60
        .size:           4
        .value_kind:     hidden_block_count_y
      - .offset:         64
        .size:           4
        .value_kind:     hidden_block_count_z
      - .offset:         68
        .size:           2
        .value_kind:     hidden_group_size_x
      - .offset:         70
        .size:           2
        .value_kind:     hidden_group_size_y
      - .offset:         72
        .size:           2
        .value_kind:     hidden_group_size_z
      - .offset:         74
        .size:           2
        .value_kind:     hidden_remainder_x
      - .offset:         76
        .size:           2
        .value_kind:     hidden_remainder_y
      - .offset:         78
        .size:           2
        .value_kind:     hidden_remainder_z
      - .offset:         96
        .size:           8
        .value_kind:     hidden_global_offset_x
      - .offset:         104
        .size:           8
        .value_kind:     hidden_global_offset_y
      - .offset:         112
        .size:           8
        .value_kind:     hidden_global_offset_z
      - .offset:         120
        .size:           2
        .value_kind:     hidden_grid_dims
    .group_segment_fixed_size: 0
    .kernarg_segment_align: 8
    .kernarg_segment_size: 312
    .language:       OpenCL C
    .language_version:
      - 2
      - 0
    .max_flat_workgroup_size: 1024
    .name:           _ZN2at6native12_GLOBAL__N_128upsample_nearest1d_out_frameIN3c108BFloat16EXadL_ZNS0_37nearest_neighbor_compute_source_indexEfiiEEEEvPKT_mmmmPS5_f
    .private_segment_fixed_size: 0
    .sgpr_count:     31
    .sgpr_spill_count: 0
    .symbol:         _ZN2at6native12_GLOBAL__N_128upsample_nearest1d_out_frameIN3c108BFloat16EXadL_ZNS0_37nearest_neighbor_compute_source_indexEfiiEEEEvPKT_mmmmPS5_f.kd
    .uniform_work_group_size: 1
    .uses_dynamic_stack: false
    .vgpr_count:     11
    .vgpr_spill_count: 0
    .wavefront_size: 64
  - .args:
      - .address_space:  global
        .offset:         0
        .size:           8
        .value_kind:     global_buffer
      - .offset:         8
        .size:           8
        .value_kind:     by_value
      - .offset:         16
        .size:           8
        .value_kind:     by_value
      - .offset:         24
        .size:           8
        .value_kind:     by_value
      - .offset:         32
        .size:           8
        .value_kind:     by_value
      - .address_space:  global
        .offset:         40
        .size:           8
        .value_kind:     global_buffer
      - .offset:         48
        .size:           4
        .value_kind:     by_value
      - .offset:         56
        .size:           4
        .value_kind:     hidden_block_count_x
      - .offset:         60
        .size:           4
        .value_kind:     hidden_block_count_y
      - .offset:         64
        .size:           4
        .value_kind:     hidden_block_count_z
      - .offset:         68
        .size:           2
        .value_kind:     hidden_group_size_x
      - .offset:         70
        .size:           2
        .value_kind:     hidden_group_size_y
      - .offset:         72
        .size:           2
        .value_kind:     hidden_group_size_z
      - .offset:         74
        .size:           2
        .value_kind:     hidden_remainder_x
      - .offset:         76
        .size:           2
        .value_kind:     hidden_remainder_y
      - .offset:         78
        .size:           2
        .value_kind:     hidden_remainder_z
      - .offset:         96
        .size:           8
        .value_kind:     hidden_global_offset_x
      - .offset:         104
        .size:           8
        .value_kind:     hidden_global_offset_y
      - .offset:         112
        .size:           8
        .value_kind:     hidden_global_offset_z
      - .offset:         120
        .size:           2
        .value_kind:     hidden_grid_dims
    .group_segment_fixed_size: 0
    .kernarg_segment_align: 8
    .kernarg_segment_size: 312
    .language:       OpenCL C
    .language_version:
      - 2
      - 0
    .max_flat_workgroup_size: 1024
    .name:           _ZN2at6native12_GLOBAL__N_128upsample_nearest1d_out_frameIhXadL_ZNS0_37nearest_neighbor_compute_source_indexEfiiEEEEvPKT_mmmmPS3_f
    .private_segment_fixed_size: 0
    .sgpr_count:     31
    .sgpr_spill_count: 0
    .symbol:         _ZN2at6native12_GLOBAL__N_128upsample_nearest1d_out_frameIhXadL_ZNS0_37nearest_neighbor_compute_source_indexEfiiEEEEvPKT_mmmmPS3_f.kd
    .uniform_work_group_size: 1
    .uses_dynamic_stack: false
    .vgpr_count:     11
    .vgpr_spill_count: 0
    .wavefront_size: 64
  - .args:
      - .address_space:  global
        .offset:         0
        .size:           8
        .value_kind:     global_buffer
      - .offset:         8
        .size:           8
        .value_kind:     by_value
      - .offset:         16
        .size:           8
        .value_kind:     by_value
      - .offset:         24
        .size:           8
        .value_kind:     by_value
      - .offset:         32
        .size:           8
        .value_kind:     by_value
      - .address_space:  global
        .offset:         40
        .size:           8
        .value_kind:     global_buffer
      - .offset:         48
        .size:           4
        .value_kind:     by_value
      - .offset:         56
        .size:           4
        .value_kind:     hidden_block_count_x
      - .offset:         60
        .size:           4
        .value_kind:     hidden_block_count_y
      - .offset:         64
        .size:           4
        .value_kind:     hidden_block_count_z
      - .offset:         68
        .size:           2
        .value_kind:     hidden_group_size_x
      - .offset:         70
        .size:           2
        .value_kind:     hidden_group_size_y
      - .offset:         72
        .size:           2
        .value_kind:     hidden_group_size_z
      - .offset:         74
        .size:           2
        .value_kind:     hidden_remainder_x
      - .offset:         76
        .size:           2
        .value_kind:     hidden_remainder_y
      - .offset:         78
        .size:           2
        .value_kind:     hidden_remainder_z
      - .offset:         96
        .size:           8
        .value_kind:     hidden_global_offset_x
      - .offset:         104
        .size:           8
        .value_kind:     hidden_global_offset_y
      - .offset:         112
        .size:           8
        .value_kind:     hidden_global_offset_z
      - .offset:         120
        .size:           2
        .value_kind:     hidden_grid_dims
    .group_segment_fixed_size: 0
    .kernarg_segment_align: 8
    .kernarg_segment_size: 312
    .language:       OpenCL C
    .language_version:
      - 2
      - 0
    .max_flat_workgroup_size: 1024
    .name:           _ZN2at6native12_GLOBAL__N_128upsample_nearest1d_out_frameIdXadL_ZNS0_43nearest_neighbor_exact_compute_source_indexEfiiEEEEvPKT_mmmmPS3_f
    .private_segment_fixed_size: 0
    .sgpr_count:     31
    .sgpr_spill_count: 0
    .symbol:         _ZN2at6native12_GLOBAL__N_128upsample_nearest1d_out_frameIdXadL_ZNS0_43nearest_neighbor_exact_compute_source_indexEfiiEEEEvPKT_mmmmPS3_f.kd
    .uniform_work_group_size: 1
    .uses_dynamic_stack: false
    .vgpr_count:     11
    .vgpr_spill_count: 0
    .wavefront_size: 64
  - .args:
      - .address_space:  global
        .offset:         0
        .size:           8
        .value_kind:     global_buffer
      - .offset:         8
        .size:           8
        .value_kind:     by_value
      - .offset:         16
        .size:           8
        .value_kind:     by_value
      - .offset:         24
        .size:           8
        .value_kind:     by_value
      - .offset:         32
        .size:           8
        .value_kind:     by_value
      - .address_space:  global
        .offset:         40
        .size:           8
        .value_kind:     global_buffer
      - .offset:         48
        .size:           4
        .value_kind:     by_value
      - .offset:         56
        .size:           4
        .value_kind:     hidden_block_count_x
      - .offset:         60
        .size:           4
        .value_kind:     hidden_block_count_y
      - .offset:         64
        .size:           4
        .value_kind:     hidden_block_count_z
      - .offset:         68
        .size:           2
        .value_kind:     hidden_group_size_x
      - .offset:         70
        .size:           2
        .value_kind:     hidden_group_size_y
      - .offset:         72
        .size:           2
        .value_kind:     hidden_group_size_z
      - .offset:         74
        .size:           2
        .value_kind:     hidden_remainder_x
      - .offset:         76
        .size:           2
        .value_kind:     hidden_remainder_y
      - .offset:         78
        .size:           2
        .value_kind:     hidden_remainder_z
      - .offset:         96
        .size:           8
        .value_kind:     hidden_global_offset_x
      - .offset:         104
        .size:           8
        .value_kind:     hidden_global_offset_y
      - .offset:         112
        .size:           8
        .value_kind:     hidden_global_offset_z
      - .offset:         120
        .size:           2
        .value_kind:     hidden_grid_dims
    .group_segment_fixed_size: 0
    .kernarg_segment_align: 8
    .kernarg_segment_size: 312
    .language:       OpenCL C
    .language_version:
      - 2
      - 0
    .max_flat_workgroup_size: 1024
    .name:           _ZN2at6native12_GLOBAL__N_128upsample_nearest1d_out_frameIfXadL_ZNS0_43nearest_neighbor_exact_compute_source_indexEfiiEEEEvPKT_mmmmPS3_f
    .private_segment_fixed_size: 0
    .sgpr_count:     31
    .sgpr_spill_count: 0
    .symbol:         _ZN2at6native12_GLOBAL__N_128upsample_nearest1d_out_frameIfXadL_ZNS0_43nearest_neighbor_exact_compute_source_indexEfiiEEEEvPKT_mmmmPS3_f.kd
    .uniform_work_group_size: 1
    .uses_dynamic_stack: false
    .vgpr_count:     11
    .vgpr_spill_count: 0
    .wavefront_size: 64
  - .args:
      - .address_space:  global
        .offset:         0
        .size:           8
        .value_kind:     global_buffer
      - .offset:         8
        .size:           8
        .value_kind:     by_value
      - .offset:         16
        .size:           8
        .value_kind:     by_value
      - .offset:         24
        .size:           8
        .value_kind:     by_value
      - .offset:         32
        .size:           8
        .value_kind:     by_value
      - .address_space:  global
        .offset:         40
        .size:           8
        .value_kind:     global_buffer
      - .offset:         48
        .size:           4
        .value_kind:     by_value
      - .offset:         56
        .size:           4
        .value_kind:     hidden_block_count_x
      - .offset:         60
        .size:           4
        .value_kind:     hidden_block_count_y
      - .offset:         64
        .size:           4
        .value_kind:     hidden_block_count_z
      - .offset:         68
        .size:           2
        .value_kind:     hidden_group_size_x
      - .offset:         70
        .size:           2
        .value_kind:     hidden_group_size_y
      - .offset:         72
        .size:           2
        .value_kind:     hidden_group_size_z
      - .offset:         74
        .size:           2
        .value_kind:     hidden_remainder_x
      - .offset:         76
        .size:           2
        .value_kind:     hidden_remainder_y
      - .offset:         78
        .size:           2
        .value_kind:     hidden_remainder_z
      - .offset:         96
        .size:           8
        .value_kind:     hidden_global_offset_x
      - .offset:         104
        .size:           8
        .value_kind:     hidden_global_offset_y
      - .offset:         112
        .size:           8
        .value_kind:     hidden_global_offset_z
      - .offset:         120
        .size:           2
        .value_kind:     hidden_grid_dims
    .group_segment_fixed_size: 0
    .kernarg_segment_align: 8
    .kernarg_segment_size: 312
    .language:       OpenCL C
    .language_version:
      - 2
      - 0
    .max_flat_workgroup_size: 1024
    .name:           _ZN2at6native12_GLOBAL__N_128upsample_nearest1d_out_frameIN3c104HalfEXadL_ZNS0_43nearest_neighbor_exact_compute_source_indexEfiiEEEEvPKT_mmmmPS5_f
    .private_segment_fixed_size: 0
    .sgpr_count:     31
    .sgpr_spill_count: 0
    .symbol:         _ZN2at6native12_GLOBAL__N_128upsample_nearest1d_out_frameIN3c104HalfEXadL_ZNS0_43nearest_neighbor_exact_compute_source_indexEfiiEEEEvPKT_mmmmPS5_f.kd
    .uniform_work_group_size: 1
    .uses_dynamic_stack: false
    .vgpr_count:     11
    .vgpr_spill_count: 0
    .wavefront_size: 64
  - .args:
      - .address_space:  global
        .offset:         0
        .size:           8
        .value_kind:     global_buffer
      - .offset:         8
        .size:           8
        .value_kind:     by_value
      - .offset:         16
        .size:           8
        .value_kind:     by_value
      - .offset:         24
        .size:           8
        .value_kind:     by_value
      - .offset:         32
        .size:           8
        .value_kind:     by_value
      - .address_space:  global
        .offset:         40
        .size:           8
        .value_kind:     global_buffer
      - .offset:         48
        .size:           4
        .value_kind:     by_value
      - .offset:         56
        .size:           4
        .value_kind:     hidden_block_count_x
      - .offset:         60
        .size:           4
        .value_kind:     hidden_block_count_y
      - .offset:         64
        .size:           4
        .value_kind:     hidden_block_count_z
      - .offset:         68
        .size:           2
        .value_kind:     hidden_group_size_x
      - .offset:         70
        .size:           2
        .value_kind:     hidden_group_size_y
      - .offset:         72
        .size:           2
        .value_kind:     hidden_group_size_z
      - .offset:         74
        .size:           2
        .value_kind:     hidden_remainder_x
      - .offset:         76
        .size:           2
        .value_kind:     hidden_remainder_y
      - .offset:         78
        .size:           2
        .value_kind:     hidden_remainder_z
      - .offset:         96
        .size:           8
        .value_kind:     hidden_global_offset_x
      - .offset:         104
        .size:           8
        .value_kind:     hidden_global_offset_y
      - .offset:         112
        .size:           8
        .value_kind:     hidden_global_offset_z
      - .offset:         120
        .size:           2
        .value_kind:     hidden_grid_dims
    .group_segment_fixed_size: 0
    .kernarg_segment_align: 8
    .kernarg_segment_size: 312
    .language:       OpenCL C
    .language_version:
      - 2
      - 0
    .max_flat_workgroup_size: 1024
    .name:           _ZN2at6native12_GLOBAL__N_128upsample_nearest1d_out_frameIN3c108BFloat16EXadL_ZNS0_43nearest_neighbor_exact_compute_source_indexEfiiEEEEvPKT_mmmmPS5_f
    .private_segment_fixed_size: 0
    .sgpr_count:     31
    .sgpr_spill_count: 0
    .symbol:         _ZN2at6native12_GLOBAL__N_128upsample_nearest1d_out_frameIN3c108BFloat16EXadL_ZNS0_43nearest_neighbor_exact_compute_source_indexEfiiEEEEvPKT_mmmmPS5_f.kd
    .uniform_work_group_size: 1
    .uses_dynamic_stack: false
    .vgpr_count:     11
    .vgpr_spill_count: 0
    .wavefront_size: 64
  - .args:
      - .address_space:  global
        .offset:         0
        .size:           8
        .value_kind:     global_buffer
      - .offset:         8
        .size:           8
        .value_kind:     by_value
      - .offset:         16
        .size:           8
        .value_kind:     by_value
      - .offset:         24
        .size:           8
        .value_kind:     by_value
      - .offset:         32
        .size:           8
        .value_kind:     by_value
      - .address_space:  global
        .offset:         40
        .size:           8
        .value_kind:     global_buffer
      - .offset:         48
        .size:           4
        .value_kind:     by_value
      - .offset:         56
        .size:           4
        .value_kind:     hidden_block_count_x
      - .offset:         60
        .size:           4
        .value_kind:     hidden_block_count_y
      - .offset:         64
        .size:           4
        .value_kind:     hidden_block_count_z
      - .offset:         68
        .size:           2
        .value_kind:     hidden_group_size_x
      - .offset:         70
        .size:           2
        .value_kind:     hidden_group_size_y
      - .offset:         72
        .size:           2
        .value_kind:     hidden_group_size_z
      - .offset:         74
        .size:           2
        .value_kind:     hidden_remainder_x
      - .offset:         76
        .size:           2
        .value_kind:     hidden_remainder_y
      - .offset:         78
        .size:           2
        .value_kind:     hidden_remainder_z
      - .offset:         96
        .size:           8
        .value_kind:     hidden_global_offset_x
      - .offset:         104
        .size:           8
        .value_kind:     hidden_global_offset_y
      - .offset:         112
        .size:           8
        .value_kind:     hidden_global_offset_z
      - .offset:         120
        .size:           2
        .value_kind:     hidden_grid_dims
    .group_segment_fixed_size: 0
    .kernarg_segment_align: 8
    .kernarg_segment_size: 312
    .language:       OpenCL C
    .language_version:
      - 2
      - 0
    .max_flat_workgroup_size: 1024
    .name:           _ZN2at6native12_GLOBAL__N_128upsample_nearest1d_out_frameIhXadL_ZNS0_43nearest_neighbor_exact_compute_source_indexEfiiEEEEvPKT_mmmmPS3_f
    .private_segment_fixed_size: 0
    .sgpr_count:     31
    .sgpr_spill_count: 0
    .symbol:         _ZN2at6native12_GLOBAL__N_128upsample_nearest1d_out_frameIhXadL_ZNS0_43nearest_neighbor_exact_compute_source_indexEfiiEEEEvPKT_mmmmPS3_f.kd
    .uniform_work_group_size: 1
    .uses_dynamic_stack: false
    .vgpr_count:     11
    .vgpr_spill_count: 0
    .wavefront_size: 64
  - .args:
      - .address_space:  global
        .offset:         0
        .size:           8
        .value_kind:     global_buffer
      - .offset:         8
        .size:           8
        .value_kind:     by_value
      - .offset:         16
        .size:           8
        .value_kind:     by_value
      - .offset:         24
        .size:           8
        .value_kind:     by_value
      - .offset:         32
        .size:           8
        .value_kind:     by_value
      - .address_space:  global
        .offset:         40
        .size:           8
        .value_kind:     global_buffer
      - .offset:         48
        .size:           4
        .value_kind:     by_value
      - .offset:         56
        .size:           4
        .value_kind:     hidden_block_count_x
      - .offset:         60
        .size:           4
        .value_kind:     hidden_block_count_y
      - .offset:         64
        .size:           4
        .value_kind:     hidden_block_count_z
      - .offset:         68
        .size:           2
        .value_kind:     hidden_group_size_x
      - .offset:         70
        .size:           2
        .value_kind:     hidden_group_size_y
      - .offset:         72
        .size:           2
        .value_kind:     hidden_group_size_z
      - .offset:         74
        .size:           2
        .value_kind:     hidden_remainder_x
      - .offset:         76
        .size:           2
        .value_kind:     hidden_remainder_y
      - .offset:         78
        .size:           2
        .value_kind:     hidden_remainder_z
      - .offset:         96
        .size:           8
        .value_kind:     hidden_global_offset_x
      - .offset:         104
        .size:           8
        .value_kind:     hidden_global_offset_y
      - .offset:         112
        .size:           8
        .value_kind:     hidden_global_offset_z
      - .offset:         120
        .size:           2
        .value_kind:     hidden_grid_dims
    .group_segment_fixed_size: 0
    .kernarg_segment_align: 8
    .kernarg_segment_size: 312
    .language:       OpenCL C
    .language_version:
      - 2
      - 0
    .max_flat_workgroup_size: 1024
    .name:           _ZN2at6native12_GLOBAL__N_137upsample_nearest1d_backward_out_frameIddXadL_ZNS0_40nearest_neighbor_bw_compute_source_indexEfiiEEEEvPKT_mmmmPS3_f
    .private_segment_fixed_size: 0
    .sgpr_count:     30
    .sgpr_spill_count: 0
    .symbol:         _ZN2at6native12_GLOBAL__N_137upsample_nearest1d_backward_out_frameIddXadL_ZNS0_40nearest_neighbor_bw_compute_source_indexEfiiEEEEvPKT_mmmmPS3_f.kd
    .uniform_work_group_size: 1
    .uses_dynamic_stack: false
    .vgpr_count:     13
    .vgpr_spill_count: 0
    .wavefront_size: 64
  - .args:
      - .address_space:  global
        .offset:         0
        .size:           8
        .value_kind:     global_buffer
      - .offset:         8
        .size:           8
        .value_kind:     by_value
      - .offset:         16
        .size:           8
        .value_kind:     by_value
      - .offset:         24
        .size:           8
        .value_kind:     by_value
      - .offset:         32
        .size:           8
        .value_kind:     by_value
      - .address_space:  global
        .offset:         40
        .size:           8
        .value_kind:     global_buffer
      - .offset:         48
        .size:           4
        .value_kind:     by_value
      - .offset:         56
        .size:           4
        .value_kind:     hidden_block_count_x
      - .offset:         60
        .size:           4
        .value_kind:     hidden_block_count_y
      - .offset:         64
        .size:           4
        .value_kind:     hidden_block_count_z
      - .offset:         68
        .size:           2
        .value_kind:     hidden_group_size_x
      - .offset:         70
        .size:           2
        .value_kind:     hidden_group_size_y
      - .offset:         72
        .size:           2
        .value_kind:     hidden_group_size_z
      - .offset:         74
        .size:           2
        .value_kind:     hidden_remainder_x
      - .offset:         76
        .size:           2
        .value_kind:     hidden_remainder_y
      - .offset:         78
        .size:           2
        .value_kind:     hidden_remainder_z
      - .offset:         96
        .size:           8
        .value_kind:     hidden_global_offset_x
      - .offset:         104
        .size:           8
        .value_kind:     hidden_global_offset_y
      - .offset:         112
        .size:           8
        .value_kind:     hidden_global_offset_z
      - .offset:         120
        .size:           2
        .value_kind:     hidden_grid_dims
    .group_segment_fixed_size: 0
    .kernarg_segment_align: 8
    .kernarg_segment_size: 312
    .language:       OpenCL C
    .language_version:
      - 2
      - 0
    .max_flat_workgroup_size: 1024
    .name:           _ZN2at6native12_GLOBAL__N_137upsample_nearest1d_backward_out_frameIffXadL_ZNS0_40nearest_neighbor_bw_compute_source_indexEfiiEEEEvPKT_mmmmPS3_f
    .private_segment_fixed_size: 0
    .sgpr_count:     30
    .sgpr_spill_count: 0
    .symbol:         _ZN2at6native12_GLOBAL__N_137upsample_nearest1d_backward_out_frameIffXadL_ZNS0_40nearest_neighbor_bw_compute_source_indexEfiiEEEEvPKT_mmmmPS3_f.kd
    .uniform_work_group_size: 1
    .uses_dynamic_stack: false
    .vgpr_count:     12
    .vgpr_spill_count: 0
    .wavefront_size: 64
  - .args:
      - .address_space:  global
        .offset:         0
        .size:           8
        .value_kind:     global_buffer
      - .offset:         8
        .size:           8
        .value_kind:     by_value
      - .offset:         16
        .size:           8
        .value_kind:     by_value
      - .offset:         24
        .size:           8
        .value_kind:     by_value
      - .offset:         32
        .size:           8
        .value_kind:     by_value
      - .address_space:  global
        .offset:         40
        .size:           8
        .value_kind:     global_buffer
      - .offset:         48
        .size:           4
        .value_kind:     by_value
      - .offset:         56
        .size:           4
        .value_kind:     hidden_block_count_x
      - .offset:         60
        .size:           4
        .value_kind:     hidden_block_count_y
      - .offset:         64
        .size:           4
        .value_kind:     hidden_block_count_z
      - .offset:         68
        .size:           2
        .value_kind:     hidden_group_size_x
      - .offset:         70
        .size:           2
        .value_kind:     hidden_group_size_y
      - .offset:         72
        .size:           2
        .value_kind:     hidden_group_size_z
      - .offset:         74
        .size:           2
        .value_kind:     hidden_remainder_x
      - .offset:         76
        .size:           2
        .value_kind:     hidden_remainder_y
      - .offset:         78
        .size:           2
        .value_kind:     hidden_remainder_z
      - .offset:         96
        .size:           8
        .value_kind:     hidden_global_offset_x
      - .offset:         104
        .size:           8
        .value_kind:     hidden_global_offset_y
      - .offset:         112
        .size:           8
        .value_kind:     hidden_global_offset_z
      - .offset:         120
        .size:           2
        .value_kind:     hidden_grid_dims
    .group_segment_fixed_size: 0
    .kernarg_segment_align: 8
    .kernarg_segment_size: 312
    .language:       OpenCL C
    .language_version:
      - 2
      - 0
    .max_flat_workgroup_size: 1024
    .name:           _ZN2at6native12_GLOBAL__N_137upsample_nearest1d_backward_out_frameIN3c104HalfEfXadL_ZNS0_40nearest_neighbor_bw_compute_source_indexEfiiEEEEvPKT_mmmmPS5_f
    .private_segment_fixed_size: 0
    .sgpr_count:     30
    .sgpr_spill_count: 0
    .symbol:         _ZN2at6native12_GLOBAL__N_137upsample_nearest1d_backward_out_frameIN3c104HalfEfXadL_ZNS0_40nearest_neighbor_bw_compute_source_indexEfiiEEEEvPKT_mmmmPS5_f.kd
    .uniform_work_group_size: 1
    .uses_dynamic_stack: false
    .vgpr_count:     12
    .vgpr_spill_count: 0
    .wavefront_size: 64
  - .args:
      - .address_space:  global
        .offset:         0
        .size:           8
        .value_kind:     global_buffer
      - .offset:         8
        .size:           8
        .value_kind:     by_value
      - .offset:         16
        .size:           8
        .value_kind:     by_value
      - .offset:         24
        .size:           8
        .value_kind:     by_value
      - .offset:         32
        .size:           8
        .value_kind:     by_value
      - .address_space:  global
        .offset:         40
        .size:           8
        .value_kind:     global_buffer
      - .offset:         48
        .size:           4
        .value_kind:     by_value
      - .offset:         56
        .size:           4
        .value_kind:     hidden_block_count_x
      - .offset:         60
        .size:           4
        .value_kind:     hidden_block_count_y
      - .offset:         64
        .size:           4
        .value_kind:     hidden_block_count_z
      - .offset:         68
        .size:           2
        .value_kind:     hidden_group_size_x
      - .offset:         70
        .size:           2
        .value_kind:     hidden_group_size_y
      - .offset:         72
        .size:           2
        .value_kind:     hidden_group_size_z
      - .offset:         74
        .size:           2
        .value_kind:     hidden_remainder_x
      - .offset:         76
        .size:           2
        .value_kind:     hidden_remainder_y
      - .offset:         78
        .size:           2
        .value_kind:     hidden_remainder_z
      - .offset:         96
        .size:           8
        .value_kind:     hidden_global_offset_x
      - .offset:         104
        .size:           8
        .value_kind:     hidden_global_offset_y
      - .offset:         112
        .size:           8
        .value_kind:     hidden_global_offset_z
      - .offset:         120
        .size:           2
        .value_kind:     hidden_grid_dims
    .group_segment_fixed_size: 0
    .kernarg_segment_align: 8
    .kernarg_segment_size: 312
    .language:       OpenCL C
    .language_version:
      - 2
      - 0
    .max_flat_workgroup_size: 1024
    .name:           _ZN2at6native12_GLOBAL__N_137upsample_nearest1d_backward_out_frameIN3c108BFloat16EfXadL_ZNS0_40nearest_neighbor_bw_compute_source_indexEfiiEEEEvPKT_mmmmPS5_f
    .private_segment_fixed_size: 0
    .sgpr_count:     30
    .sgpr_spill_count: 0
    .symbol:         _ZN2at6native12_GLOBAL__N_137upsample_nearest1d_backward_out_frameIN3c108BFloat16EfXadL_ZNS0_40nearest_neighbor_bw_compute_source_indexEfiiEEEEvPKT_mmmmPS5_f.kd
    .uniform_work_group_size: 1
    .uses_dynamic_stack: false
    .vgpr_count:     13
    .vgpr_spill_count: 0
    .wavefront_size: 64
  - .args:
      - .address_space:  global
        .offset:         0
        .size:           8
        .value_kind:     global_buffer
      - .offset:         8
        .size:           8
        .value_kind:     by_value
      - .offset:         16
        .size:           8
        .value_kind:     by_value
      - .offset:         24
        .size:           8
        .value_kind:     by_value
      - .offset:         32
        .size:           8
        .value_kind:     by_value
      - .address_space:  global
        .offset:         40
        .size:           8
        .value_kind:     global_buffer
      - .offset:         48
        .size:           4
        .value_kind:     by_value
      - .offset:         56
        .size:           4
        .value_kind:     hidden_block_count_x
      - .offset:         60
        .size:           4
        .value_kind:     hidden_block_count_y
      - .offset:         64
        .size:           4
        .value_kind:     hidden_block_count_z
      - .offset:         68
        .size:           2
        .value_kind:     hidden_group_size_x
      - .offset:         70
        .size:           2
        .value_kind:     hidden_group_size_y
      - .offset:         72
        .size:           2
        .value_kind:     hidden_group_size_z
      - .offset:         74
        .size:           2
        .value_kind:     hidden_remainder_x
      - .offset:         76
        .size:           2
        .value_kind:     hidden_remainder_y
      - .offset:         78
        .size:           2
        .value_kind:     hidden_remainder_z
      - .offset:         96
        .size:           8
        .value_kind:     hidden_global_offset_x
      - .offset:         104
        .size:           8
        .value_kind:     hidden_global_offset_y
      - .offset:         112
        .size:           8
        .value_kind:     hidden_global_offset_z
      - .offset:         120
        .size:           2
        .value_kind:     hidden_grid_dims
    .group_segment_fixed_size: 0
    .kernarg_segment_align: 8
    .kernarg_segment_size: 312
    .language:       OpenCL C
    .language_version:
      - 2
      - 0
    .max_flat_workgroup_size: 1024
    .name:           _ZN2at6native12_GLOBAL__N_137upsample_nearest1d_backward_out_frameIhlXadL_ZNS0_40nearest_neighbor_bw_compute_source_indexEfiiEEEEvPKT_mmmmPS3_f
    .private_segment_fixed_size: 0
    .sgpr_count:     30
    .sgpr_spill_count: 0
    .symbol:         _ZN2at6native12_GLOBAL__N_137upsample_nearest1d_backward_out_frameIhlXadL_ZNS0_40nearest_neighbor_bw_compute_source_indexEfiiEEEEvPKT_mmmmPS3_f.kd
    .uniform_work_group_size: 1
    .uses_dynamic_stack: false
    .vgpr_count:     12
    .vgpr_spill_count: 0
    .wavefront_size: 64
  - .args:
      - .address_space:  global
        .offset:         0
        .size:           8
        .value_kind:     global_buffer
      - .offset:         8
        .size:           8
        .value_kind:     by_value
      - .offset:         16
        .size:           8
        .value_kind:     by_value
      - .offset:         24
        .size:           8
        .value_kind:     by_value
      - .offset:         32
        .size:           8
        .value_kind:     by_value
      - .address_space:  global
        .offset:         40
        .size:           8
        .value_kind:     global_buffer
      - .offset:         48
        .size:           4
        .value_kind:     by_value
      - .offset:         56
        .size:           4
        .value_kind:     hidden_block_count_x
      - .offset:         60
        .size:           4
        .value_kind:     hidden_block_count_y
      - .offset:         64
        .size:           4
        .value_kind:     hidden_block_count_z
      - .offset:         68
        .size:           2
        .value_kind:     hidden_group_size_x
      - .offset:         70
        .size:           2
        .value_kind:     hidden_group_size_y
      - .offset:         72
        .size:           2
        .value_kind:     hidden_group_size_z
      - .offset:         74
        .size:           2
        .value_kind:     hidden_remainder_x
      - .offset:         76
        .size:           2
        .value_kind:     hidden_remainder_y
      - .offset:         78
        .size:           2
        .value_kind:     hidden_remainder_z
      - .offset:         96
        .size:           8
        .value_kind:     hidden_global_offset_x
      - .offset:         104
        .size:           8
        .value_kind:     hidden_global_offset_y
      - .offset:         112
        .size:           8
        .value_kind:     hidden_global_offset_z
      - .offset:         120
        .size:           2
        .value_kind:     hidden_grid_dims
    .group_segment_fixed_size: 0
    .kernarg_segment_align: 8
    .kernarg_segment_size: 312
    .language:       OpenCL C
    .language_version:
      - 2
      - 0
    .max_flat_workgroup_size: 1024
    .name:           _ZN2at6native12_GLOBAL__N_137upsample_nearest1d_backward_out_frameIddXadL_ZNS0_46nearest_neighbor_exact_bw_compute_source_indexEfiiEEEEvPKT_mmmmPS3_f
    .private_segment_fixed_size: 0
    .sgpr_count:     30
    .sgpr_spill_count: 0
    .symbol:         _ZN2at6native12_GLOBAL__N_137upsample_nearest1d_backward_out_frameIddXadL_ZNS0_46nearest_neighbor_exact_bw_compute_source_indexEfiiEEEEvPKT_mmmmPS3_f.kd
    .uniform_work_group_size: 1
    .uses_dynamic_stack: false
    .vgpr_count:     13
    .vgpr_spill_count: 0
    .wavefront_size: 64
  - .args:
      - .address_space:  global
        .offset:         0
        .size:           8
        .value_kind:     global_buffer
      - .offset:         8
        .size:           8
        .value_kind:     by_value
      - .offset:         16
        .size:           8
        .value_kind:     by_value
      - .offset:         24
        .size:           8
        .value_kind:     by_value
      - .offset:         32
        .size:           8
        .value_kind:     by_value
      - .address_space:  global
        .offset:         40
        .size:           8
        .value_kind:     global_buffer
      - .offset:         48
        .size:           4
        .value_kind:     by_value
      - .offset:         56
        .size:           4
        .value_kind:     hidden_block_count_x
      - .offset:         60
        .size:           4
        .value_kind:     hidden_block_count_y
      - .offset:         64
        .size:           4
        .value_kind:     hidden_block_count_z
      - .offset:         68
        .size:           2
        .value_kind:     hidden_group_size_x
      - .offset:         70
        .size:           2
        .value_kind:     hidden_group_size_y
      - .offset:         72
        .size:           2
        .value_kind:     hidden_group_size_z
      - .offset:         74
        .size:           2
        .value_kind:     hidden_remainder_x
      - .offset:         76
        .size:           2
        .value_kind:     hidden_remainder_y
      - .offset:         78
        .size:           2
        .value_kind:     hidden_remainder_z
      - .offset:         96
        .size:           8
        .value_kind:     hidden_global_offset_x
      - .offset:         104
        .size:           8
        .value_kind:     hidden_global_offset_y
      - .offset:         112
        .size:           8
        .value_kind:     hidden_global_offset_z
      - .offset:         120
        .size:           2
        .value_kind:     hidden_grid_dims
    .group_segment_fixed_size: 0
    .kernarg_segment_align: 8
    .kernarg_segment_size: 312
    .language:       OpenCL C
    .language_version:
      - 2
      - 0
    .max_flat_workgroup_size: 1024
    .name:           _ZN2at6native12_GLOBAL__N_137upsample_nearest1d_backward_out_frameIffXadL_ZNS0_46nearest_neighbor_exact_bw_compute_source_indexEfiiEEEEvPKT_mmmmPS3_f
    .private_segment_fixed_size: 0
    .sgpr_count:     30
    .sgpr_spill_count: 0
    .symbol:         _ZN2at6native12_GLOBAL__N_137upsample_nearest1d_backward_out_frameIffXadL_ZNS0_46nearest_neighbor_exact_bw_compute_source_indexEfiiEEEEvPKT_mmmmPS3_f.kd
    .uniform_work_group_size: 1
    .uses_dynamic_stack: false
    .vgpr_count:     12
    .vgpr_spill_count: 0
    .wavefront_size: 64
  - .args:
      - .address_space:  global
        .offset:         0
        .size:           8
        .value_kind:     global_buffer
      - .offset:         8
        .size:           8
        .value_kind:     by_value
      - .offset:         16
        .size:           8
        .value_kind:     by_value
      - .offset:         24
        .size:           8
        .value_kind:     by_value
      - .offset:         32
        .size:           8
        .value_kind:     by_value
      - .address_space:  global
        .offset:         40
        .size:           8
        .value_kind:     global_buffer
      - .offset:         48
        .size:           4
        .value_kind:     by_value
      - .offset:         56
        .size:           4
        .value_kind:     hidden_block_count_x
      - .offset:         60
        .size:           4
        .value_kind:     hidden_block_count_y
      - .offset:         64
        .size:           4
        .value_kind:     hidden_block_count_z
      - .offset:         68
        .size:           2
        .value_kind:     hidden_group_size_x
      - .offset:         70
        .size:           2
        .value_kind:     hidden_group_size_y
      - .offset:         72
        .size:           2
        .value_kind:     hidden_group_size_z
      - .offset:         74
        .size:           2
        .value_kind:     hidden_remainder_x
      - .offset:         76
        .size:           2
        .value_kind:     hidden_remainder_y
      - .offset:         78
        .size:           2
        .value_kind:     hidden_remainder_z
      - .offset:         96
        .size:           8
        .value_kind:     hidden_global_offset_x
      - .offset:         104
        .size:           8
        .value_kind:     hidden_global_offset_y
      - .offset:         112
        .size:           8
        .value_kind:     hidden_global_offset_z
      - .offset:         120
        .size:           2
        .value_kind:     hidden_grid_dims
    .group_segment_fixed_size: 0
    .kernarg_segment_align: 8
    .kernarg_segment_size: 312
    .language:       OpenCL C
    .language_version:
      - 2
      - 0
    .max_flat_workgroup_size: 1024
    .name:           _ZN2at6native12_GLOBAL__N_137upsample_nearest1d_backward_out_frameIN3c104HalfEfXadL_ZNS0_46nearest_neighbor_exact_bw_compute_source_indexEfiiEEEEvPKT_mmmmPS5_f
    .private_segment_fixed_size: 0
    .sgpr_count:     30
    .sgpr_spill_count: 0
    .symbol:         _ZN2at6native12_GLOBAL__N_137upsample_nearest1d_backward_out_frameIN3c104HalfEfXadL_ZNS0_46nearest_neighbor_exact_bw_compute_source_indexEfiiEEEEvPKT_mmmmPS5_f.kd
    .uniform_work_group_size: 1
    .uses_dynamic_stack: false
    .vgpr_count:     12
    .vgpr_spill_count: 0
    .wavefront_size: 64
  - .args:
      - .address_space:  global
        .offset:         0
        .size:           8
        .value_kind:     global_buffer
      - .offset:         8
        .size:           8
        .value_kind:     by_value
      - .offset:         16
        .size:           8
        .value_kind:     by_value
      - .offset:         24
        .size:           8
        .value_kind:     by_value
      - .offset:         32
        .size:           8
        .value_kind:     by_value
      - .address_space:  global
        .offset:         40
        .size:           8
        .value_kind:     global_buffer
      - .offset:         48
        .size:           4
        .value_kind:     by_value
      - .offset:         56
        .size:           4
        .value_kind:     hidden_block_count_x
      - .offset:         60
        .size:           4
        .value_kind:     hidden_block_count_y
      - .offset:         64
        .size:           4
        .value_kind:     hidden_block_count_z
      - .offset:         68
        .size:           2
        .value_kind:     hidden_group_size_x
      - .offset:         70
        .size:           2
        .value_kind:     hidden_group_size_y
      - .offset:         72
        .size:           2
        .value_kind:     hidden_group_size_z
      - .offset:         74
        .size:           2
        .value_kind:     hidden_remainder_x
      - .offset:         76
        .size:           2
        .value_kind:     hidden_remainder_y
      - .offset:         78
        .size:           2
        .value_kind:     hidden_remainder_z
      - .offset:         96
        .size:           8
        .value_kind:     hidden_global_offset_x
      - .offset:         104
        .size:           8
        .value_kind:     hidden_global_offset_y
      - .offset:         112
        .size:           8
        .value_kind:     hidden_global_offset_z
      - .offset:         120
        .size:           2
        .value_kind:     hidden_grid_dims
    .group_segment_fixed_size: 0
    .kernarg_segment_align: 8
    .kernarg_segment_size: 312
    .language:       OpenCL C
    .language_version:
      - 2
      - 0
    .max_flat_workgroup_size: 1024
    .name:           _ZN2at6native12_GLOBAL__N_137upsample_nearest1d_backward_out_frameIN3c108BFloat16EfXadL_ZNS0_46nearest_neighbor_exact_bw_compute_source_indexEfiiEEEEvPKT_mmmmPS5_f
    .private_segment_fixed_size: 0
    .sgpr_count:     30
    .sgpr_spill_count: 0
    .symbol:         _ZN2at6native12_GLOBAL__N_137upsample_nearest1d_backward_out_frameIN3c108BFloat16EfXadL_ZNS0_46nearest_neighbor_exact_bw_compute_source_indexEfiiEEEEvPKT_mmmmPS5_f.kd
    .uniform_work_group_size: 1
    .uses_dynamic_stack: false
    .vgpr_count:     13
    .vgpr_spill_count: 0
    .wavefront_size: 64
  - .args:
      - .address_space:  global
        .offset:         0
        .size:           8
        .value_kind:     global_buffer
      - .offset:         8
        .size:           8
        .value_kind:     by_value
      - .offset:         16
        .size:           8
        .value_kind:     by_value
      - .offset:         24
        .size:           8
        .value_kind:     by_value
      - .offset:         32
        .size:           8
        .value_kind:     by_value
      - .address_space:  global
        .offset:         40
        .size:           8
        .value_kind:     global_buffer
      - .offset:         48
        .size:           4
        .value_kind:     by_value
      - .offset:         56
        .size:           4
        .value_kind:     hidden_block_count_x
      - .offset:         60
        .size:           4
        .value_kind:     hidden_block_count_y
      - .offset:         64
        .size:           4
        .value_kind:     hidden_block_count_z
      - .offset:         68
        .size:           2
        .value_kind:     hidden_group_size_x
      - .offset:         70
        .size:           2
        .value_kind:     hidden_group_size_y
      - .offset:         72
        .size:           2
        .value_kind:     hidden_group_size_z
      - .offset:         74
        .size:           2
        .value_kind:     hidden_remainder_x
      - .offset:         76
        .size:           2
        .value_kind:     hidden_remainder_y
      - .offset:         78
        .size:           2
        .value_kind:     hidden_remainder_z
      - .offset:         96
        .size:           8
        .value_kind:     hidden_global_offset_x
      - .offset:         104
        .size:           8
        .value_kind:     hidden_global_offset_y
      - .offset:         112
        .size:           8
        .value_kind:     hidden_global_offset_z
      - .offset:         120
        .size:           2
        .value_kind:     hidden_grid_dims
    .group_segment_fixed_size: 0
    .kernarg_segment_align: 8
    .kernarg_segment_size: 312
    .language:       OpenCL C
    .language_version:
      - 2
      - 0
    .max_flat_workgroup_size: 1024
    .name:           _ZN2at6native12_GLOBAL__N_137upsample_nearest1d_backward_out_frameIhlXadL_ZNS0_46nearest_neighbor_exact_bw_compute_source_indexEfiiEEEEvPKT_mmmmPS3_f
    .private_segment_fixed_size: 0
    .sgpr_count:     30
    .sgpr_spill_count: 0
    .symbol:         _ZN2at6native12_GLOBAL__N_137upsample_nearest1d_backward_out_frameIhlXadL_ZNS0_46nearest_neighbor_exact_bw_compute_source_indexEfiiEEEEvPKT_mmmmPS3_f.kd
    .uniform_work_group_size: 1
    .uses_dynamic_stack: false
    .vgpr_count:     12
    .vgpr_spill_count: 0
    .wavefront_size: 64
amdhsa.target:   amdgcn-amd-amdhsa--gfx906
amdhsa.version:
  - 1
  - 2
...

	.end_amdgpu_metadata
